;; amdgpu-corpus repo=ROCm/rocFFT kind=compiled arch=gfx906 opt=O3
	.text
	.amdgcn_target "amdgcn-amd-amdhsa--gfx906"
	.amdhsa_code_object_version 6
	.protected	fft_rtc_back_len1260_factors_2_2_3_3_5_7_wgs_63_tpt_63_halfLds_dp_ip_CI_unitstride_sbrr_dirReg ; -- Begin function fft_rtc_back_len1260_factors_2_2_3_3_5_7_wgs_63_tpt_63_halfLds_dp_ip_CI_unitstride_sbrr_dirReg
	.globl	fft_rtc_back_len1260_factors_2_2_3_3_5_7_wgs_63_tpt_63_halfLds_dp_ip_CI_unitstride_sbrr_dirReg
	.p2align	8
	.type	fft_rtc_back_len1260_factors_2_2_3_3_5_7_wgs_63_tpt_63_halfLds_dp_ip_CI_unitstride_sbrr_dirReg,@function
fft_rtc_back_len1260_factors_2_2_3_3_5_7_wgs_63_tpt_63_halfLds_dp_ip_CI_unitstride_sbrr_dirReg: ; @fft_rtc_back_len1260_factors_2_2_3_3_5_7_wgs_63_tpt_63_halfLds_dp_ip_CI_unitstride_sbrr_dirReg
; %bb.0:
	s_load_dwordx2 s[2:3], s[4:5], 0x50
	s_load_dwordx4 s[8:11], s[4:5], 0x0
	s_load_dwordx2 s[12:13], s[4:5], 0x18
	v_mul_u32_u24_e32 v1, 0x411, v0
	v_add_u32_sdwa v5, s6, v1 dst_sel:DWORD dst_unused:UNUSED_PAD src0_sel:DWORD src1_sel:WORD_1
	v_mov_b32_e32 v3, 0
	s_waitcnt lgkmcnt(0)
	v_cmp_lt_u64_e64 s[0:1], s[10:11], 2
	v_mov_b32_e32 v1, 0
	v_mov_b32_e32 v6, v3
	s_and_b64 vcc, exec, s[0:1]
	v_mov_b32_e32 v2, 0
	s_cbranch_vccnz .LBB0_8
; %bb.1:
	s_load_dwordx2 s[0:1], s[4:5], 0x10
	s_add_u32 s6, s12, 8
	s_addc_u32 s7, s13, 0
	v_mov_b32_e32 v1, 0
	v_mov_b32_e32 v2, 0
	s_waitcnt lgkmcnt(0)
	s_add_u32 s14, s0, 8
	s_addc_u32 s15, s1, 0
	s_mov_b64 s[16:17], 1
.LBB0_2:                                ; =>This Inner Loop Header: Depth=1
	s_load_dwordx2 s[18:19], s[14:15], 0x0
                                        ; implicit-def: $vgpr7_vgpr8
	s_waitcnt lgkmcnt(0)
	v_or_b32_e32 v4, s19, v6
	v_cmp_ne_u64_e32 vcc, 0, v[3:4]
	s_and_saveexec_b64 s[0:1], vcc
	s_xor_b64 s[20:21], exec, s[0:1]
	s_cbranch_execz .LBB0_4
; %bb.3:                                ;   in Loop: Header=BB0_2 Depth=1
	v_cvt_f32_u32_e32 v4, s18
	v_cvt_f32_u32_e32 v7, s19
	s_sub_u32 s0, 0, s18
	s_subb_u32 s1, 0, s19
	v_mac_f32_e32 v4, 0x4f800000, v7
	v_rcp_f32_e32 v4, v4
	v_mul_f32_e32 v4, 0x5f7ffffc, v4
	v_mul_f32_e32 v7, 0x2f800000, v4
	v_trunc_f32_e32 v7, v7
	v_mac_f32_e32 v4, 0xcf800000, v7
	v_cvt_u32_f32_e32 v7, v7
	v_cvt_u32_f32_e32 v4, v4
	v_mul_lo_u32 v8, s0, v7
	v_mul_hi_u32 v9, s0, v4
	v_mul_lo_u32 v11, s1, v4
	v_mul_lo_u32 v10, s0, v4
	v_add_u32_e32 v8, v9, v8
	v_add_u32_e32 v8, v8, v11
	v_mul_hi_u32 v9, v4, v10
	v_mul_lo_u32 v11, v4, v8
	v_mul_hi_u32 v13, v4, v8
	v_mul_hi_u32 v12, v7, v10
	v_mul_lo_u32 v10, v7, v10
	v_mul_hi_u32 v14, v7, v8
	v_add_co_u32_e32 v9, vcc, v9, v11
	v_addc_co_u32_e32 v11, vcc, 0, v13, vcc
	v_mul_lo_u32 v8, v7, v8
	v_add_co_u32_e32 v9, vcc, v9, v10
	v_addc_co_u32_e32 v9, vcc, v11, v12, vcc
	v_addc_co_u32_e32 v10, vcc, 0, v14, vcc
	v_add_co_u32_e32 v8, vcc, v9, v8
	v_addc_co_u32_e32 v9, vcc, 0, v10, vcc
	v_add_co_u32_e32 v4, vcc, v4, v8
	v_addc_co_u32_e32 v7, vcc, v7, v9, vcc
	v_mul_lo_u32 v8, s0, v7
	v_mul_hi_u32 v9, s0, v4
	v_mul_lo_u32 v10, s1, v4
	v_mul_lo_u32 v11, s0, v4
	v_add_u32_e32 v8, v9, v8
	v_add_u32_e32 v8, v8, v10
	v_mul_lo_u32 v12, v4, v8
	v_mul_hi_u32 v13, v4, v11
	v_mul_hi_u32 v14, v4, v8
	;; [unrolled: 1-line block ×3, first 2 shown]
	v_mul_lo_u32 v11, v7, v11
	v_mul_hi_u32 v9, v7, v8
	v_add_co_u32_e32 v12, vcc, v13, v12
	v_addc_co_u32_e32 v13, vcc, 0, v14, vcc
	v_mul_lo_u32 v8, v7, v8
	v_add_co_u32_e32 v11, vcc, v12, v11
	v_addc_co_u32_e32 v10, vcc, v13, v10, vcc
	v_addc_co_u32_e32 v9, vcc, 0, v9, vcc
	v_add_co_u32_e32 v8, vcc, v10, v8
	v_addc_co_u32_e32 v9, vcc, 0, v9, vcc
	v_add_co_u32_e32 v4, vcc, v4, v8
	v_addc_co_u32_e32 v9, vcc, v7, v9, vcc
	v_mad_u64_u32 v[7:8], s[0:1], v5, v9, 0
	v_mul_hi_u32 v10, v5, v4
	v_add_co_u32_e32 v11, vcc, v10, v7
	v_addc_co_u32_e32 v12, vcc, 0, v8, vcc
	v_mad_u64_u32 v[7:8], s[0:1], v6, v4, 0
	v_mad_u64_u32 v[9:10], s[0:1], v6, v9, 0
	v_add_co_u32_e32 v4, vcc, v11, v7
	v_addc_co_u32_e32 v4, vcc, v12, v8, vcc
	v_addc_co_u32_e32 v7, vcc, 0, v10, vcc
	v_add_co_u32_e32 v4, vcc, v4, v9
	v_addc_co_u32_e32 v9, vcc, 0, v7, vcc
	v_mul_lo_u32 v10, s19, v4
	v_mul_lo_u32 v11, s18, v9
	v_mad_u64_u32 v[7:8], s[0:1], s18, v4, 0
	v_add3_u32 v8, v8, v11, v10
	v_sub_u32_e32 v10, v6, v8
	v_mov_b32_e32 v11, s19
	v_sub_co_u32_e32 v7, vcc, v5, v7
	v_subb_co_u32_e64 v10, s[0:1], v10, v11, vcc
	v_subrev_co_u32_e64 v11, s[0:1], s18, v7
	v_subbrev_co_u32_e64 v10, s[0:1], 0, v10, s[0:1]
	v_cmp_le_u32_e64 s[0:1], s19, v10
	v_cndmask_b32_e64 v12, 0, -1, s[0:1]
	v_cmp_le_u32_e64 s[0:1], s18, v11
	v_cndmask_b32_e64 v11, 0, -1, s[0:1]
	v_cmp_eq_u32_e64 s[0:1], s19, v10
	v_cndmask_b32_e64 v10, v12, v11, s[0:1]
	v_add_co_u32_e64 v11, s[0:1], 2, v4
	v_addc_co_u32_e64 v12, s[0:1], 0, v9, s[0:1]
	v_add_co_u32_e64 v13, s[0:1], 1, v4
	v_addc_co_u32_e64 v14, s[0:1], 0, v9, s[0:1]
	v_subb_co_u32_e32 v8, vcc, v6, v8, vcc
	v_cmp_ne_u32_e64 s[0:1], 0, v10
	v_cmp_le_u32_e32 vcc, s19, v8
	v_cndmask_b32_e64 v10, v14, v12, s[0:1]
	v_cndmask_b32_e64 v12, 0, -1, vcc
	v_cmp_le_u32_e32 vcc, s18, v7
	v_cndmask_b32_e64 v7, 0, -1, vcc
	v_cmp_eq_u32_e32 vcc, s19, v8
	v_cndmask_b32_e32 v7, v12, v7, vcc
	v_cmp_ne_u32_e32 vcc, 0, v7
	v_cndmask_b32_e64 v7, v13, v11, s[0:1]
	v_cndmask_b32_e32 v8, v9, v10, vcc
	v_cndmask_b32_e32 v7, v4, v7, vcc
.LBB0_4:                                ;   in Loop: Header=BB0_2 Depth=1
	s_andn2_saveexec_b64 s[0:1], s[20:21]
	s_cbranch_execz .LBB0_6
; %bb.5:                                ;   in Loop: Header=BB0_2 Depth=1
	v_cvt_f32_u32_e32 v4, s18
	s_sub_i32 s20, 0, s18
	v_rcp_iflag_f32_e32 v4, v4
	v_mul_f32_e32 v4, 0x4f7ffffe, v4
	v_cvt_u32_f32_e32 v4, v4
	v_mul_lo_u32 v7, s20, v4
	v_mul_hi_u32 v7, v4, v7
	v_add_u32_e32 v4, v4, v7
	v_mul_hi_u32 v4, v5, v4
	v_mul_lo_u32 v7, v4, s18
	v_add_u32_e32 v8, 1, v4
	v_sub_u32_e32 v7, v5, v7
	v_subrev_u32_e32 v9, s18, v7
	v_cmp_le_u32_e32 vcc, s18, v7
	v_cndmask_b32_e32 v7, v7, v9, vcc
	v_cndmask_b32_e32 v4, v4, v8, vcc
	v_add_u32_e32 v8, 1, v4
	v_cmp_le_u32_e32 vcc, s18, v7
	v_cndmask_b32_e32 v7, v4, v8, vcc
	v_mov_b32_e32 v8, v3
.LBB0_6:                                ;   in Loop: Header=BB0_2 Depth=1
	s_or_b64 exec, exec, s[0:1]
	v_mul_lo_u32 v4, v8, s18
	v_mul_lo_u32 v11, v7, s19
	v_mad_u64_u32 v[9:10], s[0:1], v7, s18, 0
	s_load_dwordx2 s[0:1], s[6:7], 0x0
	s_add_u32 s16, s16, 1
	v_add3_u32 v4, v10, v11, v4
	v_sub_co_u32_e32 v5, vcc, v5, v9
	v_subb_co_u32_e32 v4, vcc, v6, v4, vcc
	s_waitcnt lgkmcnt(0)
	v_mul_lo_u32 v4, s0, v4
	v_mul_lo_u32 v6, s1, v5
	v_mad_u64_u32 v[1:2], s[0:1], s0, v5, v[1:2]
	s_addc_u32 s17, s17, 0
	s_add_u32 s6, s6, 8
	v_add3_u32 v2, v6, v2, v4
	v_mov_b32_e32 v4, s10
	v_mov_b32_e32 v5, s11
	s_addc_u32 s7, s7, 0
	v_cmp_ge_u64_e32 vcc, s[16:17], v[4:5]
	s_add_u32 s14, s14, 8
	s_addc_u32 s15, s15, 0
	s_cbranch_vccnz .LBB0_9
; %bb.7:                                ;   in Loop: Header=BB0_2 Depth=1
	v_mov_b32_e32 v5, v7
	v_mov_b32_e32 v6, v8
	s_branch .LBB0_2
.LBB0_8:
	v_mov_b32_e32 v8, v6
	v_mov_b32_e32 v7, v5
.LBB0_9:
	s_lshl_b64 s[0:1], s[10:11], 3
	s_add_u32 s0, s12, s0
	s_addc_u32 s1, s13, s1
	s_load_dwordx2 s[6:7], s[0:1], 0x0
	s_load_dwordx2 s[10:11], s[4:5], 0x20
                                        ; implicit-def: $vgpr42_vgpr43
                                        ; implicit-def: $vgpr26_vgpr27
                                        ; implicit-def: $vgpr46_vgpr47
                                        ; implicit-def: $vgpr30_vgpr31
                                        ; implicit-def: $vgpr54_vgpr55
                                        ; implicit-def: $vgpr18_vgpr19
                                        ; implicit-def: $vgpr34_vgpr35
                                        ; implicit-def: $vgpr22_vgpr23
                                        ; implicit-def: $vgpr50_vgpr51
                                        ; implicit-def: $vgpr38_vgpr39
                                        ; implicit-def: $vgpr58_vgpr59
                                        ; implicit-def: $vgpr62_vgpr63
                                        ; implicit-def: $vgpr66_vgpr67
                                        ; implicit-def: $vgpr10_vgpr11
                                        ; implicit-def: $vgpr70_vgpr71
                                        ; implicit-def: $vgpr74_vgpr75
                                        ; implicit-def: $vgpr14_vgpr15
                                        ; implicit-def: $vgpr78_vgpr79
	s_waitcnt lgkmcnt(0)
	v_mad_u64_u32 v[1:2], s[0:1], s6, v7, v[1:2]
	v_mul_lo_u32 v3, s6, v8
	v_mul_lo_u32 v4, s7, v7
	s_mov_b32 s0, 0x4104105
	v_mul_hi_u32 v5, v0, s0
	v_cmp_gt_u64_e32 vcc, s[10:11], v[7:8]
	v_add3_u32 v2, v4, v2, v3
	v_lshlrev_b64 v[122:123], 4, v[1:2]
	v_mul_u32_u24_e32 v3, 63, v5
	v_sub_u32_e32 v120, v0, v3
                                        ; implicit-def: $vgpr2_vgpr3
                                        ; implicit-def: $vgpr6_vgpr7
	s_and_saveexec_b64 s[4:5], vcc
	s_cbranch_execz .LBB0_11
; %bb.10:
	v_mov_b32_e32 v121, 0
	v_mov_b32_e32 v0, s3
	v_add_co_u32_e64 v2, s[0:1], s2, v122
	v_addc_co_u32_e64 v3, s[0:1], v0, v123, s[0:1]
	v_lshlrev_b64 v[0:1], 4, v[120:121]
	v_add_co_u32_e64 v40, s[0:1], v2, v0
	v_addc_co_u32_e64 v41, s[0:1], v3, v1, s[0:1]
	s_movk_i32 s0, 0x2000
	v_add_co_u32_e64 v42, s[0:1], s0, v40
	v_addc_co_u32_e64 v43, s[0:1], 0, v41, s[0:1]
	s_movk_i32 s0, 0x3000
	;; [unrolled: 3-line block ×4, first 2 shown]
	v_add_co_u32_e64 v84, s[0:1], s0, v40
	global_load_dwordx4 v[4:7], v[40:41], off
	global_load_dwordx4 v[12:15], v[40:41], off offset:1008
	global_load_dwordx4 v[0:3], v[40:41], off offset:2016
	;; [unrolled: 1-line block ×3, first 2 shown]
	v_addc_co_u32_e64 v85, s[0:1], 0, v41, s[0:1]
	global_load_dwordx4 v[56:59], v[80:81], off offset:1824
	global_load_dwordx4 v[48:51], v[80:81], off offset:2832
	;; [unrolled: 1-line block ×15, first 2 shown]
                                        ; kill: killed $vgpr82 killed $vgpr83
                                        ; kill: killed $vgpr80 killed $vgpr81
                                        ; kill: killed $vgpr40 killed $vgpr41
                                        ; kill: killed $vgpr42 killed $vgpr43
	s_nop 0
	global_load_dwordx4 v[40:43], v[84:85], off offset:2768
.LBB0_11:
	s_or_b64 exec, exec, s[4:5]
	s_waitcnt vmcnt(7)
	v_add_f64 v[76:77], v[4:5], -v[76:77]
	s_waitcnt vmcnt(6)
	v_add_f64 v[84:85], v[12:13], -v[72:73]
	v_add_f64 v[88:89], v[14:15], -v[74:75]
	;; [unrolled: 1-line block ×5, first 2 shown]
	s_waitcnt vmcnt(5)
	v_add_f64 v[58:59], v[62:63], -v[58:59]
	s_waitcnt vmcnt(1)
	v_add_f64 v[44:45], v[28:29], -v[44:45]
	v_fma_f64 v[74:75], v[4:5], 2.0, -v[76:77]
	v_add_f64 v[4:5], v[8:9], -v[64:65]
	v_add_f64 v[64:65], v[36:37], -v[48:49]
	v_add_f64 v[80:81], v[6:7], -v[78:79]
	v_fma_f64 v[82:83], v[12:13], 2.0, -v[84:85]
	v_add_f64 v[92:93], v[10:11], -v[66:67]
	v_add_f64 v[12:13], v[60:61], -v[56:57]
	v_fma_f64 v[70:71], v[2:3], 2.0, -v[72:73]
	v_fma_f64 v[48:49], v[38:39], 2.0, -v[50:51]
	;; [unrolled: 1-line block ×3, first 2 shown]
	v_add_f64 v[8:9], v[20:21], -v[32:33]
	v_add_f64 v[38:39], v[16:17], -v[52:53]
	s_waitcnt vmcnt(0)
	v_add_f64 v[100:101], v[24:25], -v[40:41]
	v_fma_f64 v[66:67], v[0:1], 2.0, -v[68:69]
	v_fma_f64 v[56:57], v[62:63], 2.0, -v[58:59]
	;; [unrolled: 1-line block ×3, first 2 shown]
	v_add_f64 v[34:35], v[22:23], -v[34:35]
	v_add_f64 v[54:55], v[18:19], -v[54:55]
	v_add_f64 v[104:105], v[26:27], -v[42:43]
	v_fma_f64 v[42:43], v[28:29], 2.0, -v[44:45]
	v_fma_f64 v[78:79], v[6:7], 2.0, -v[80:81]
	;; [unrolled: 1-line block ×4, first 2 shown]
	v_add_f64 v[96:97], v[30:31], -v[46:47]
	v_fma_f64 v[6:7], v[20:21], 2.0, -v[8:9]
	v_fma_f64 v[36:37], v[16:17], 2.0, -v[38:39]
	;; [unrolled: 1-line block ×4, first 2 shown]
	v_add_u32_e32 v130, 0x7e, v120
	v_lshl_add_u32 v60, v130, 4, 0
	v_add_u32_e32 v134, 0x13b, v120
	v_add_u32_e32 v121, 63, v120
	ds_write_b128 v60, v[66:69]
	v_lshl_add_u32 v67, v134, 4, 0
	v_add_u32_e32 v125, 0x1f8, v120
	v_fma_f64 v[32:33], v[22:23], 2.0, -v[34:35]
	v_lshl_add_u32 v47, v121, 4, 0
	v_add_u32_e32 v132, 0xbd, v120
	v_add_u32_e32 v135, 0xfc, v120
	ds_write_b128 v67, v[62:65]
	v_add_u32_e32 v133, 0x17a, v120
	v_add_u32_e32 v124, 0x1b9, v120
	v_lshl_add_u32 v64, v125, 4, 0
	v_add_u32_e32 v128, 0x237, v120
	v_lshl_add_u32 v131, v120, 3, 0
	v_fma_f64 v[52:53], v[18:19], 2.0, -v[54:55]
	v_lshl_add_u32 v46, v120, 4, 0
	ds_write_b128 v47, v[82:85]
	v_lshl_add_u32 v61, v132, 4, 0
	v_lshl_add_u32 v66, v135, 4, 0
	;; [unrolled: 1-line block ×4, first 2 shown]
	ds_write_b128 v64, v[42:45]
	v_lshl_add_u32 v44, v128, 4, 0
	v_add_u32_e32 v136, 0x1000, v131
	v_add_u32_e32 v82, 0x1400, v131
	;; [unrolled: 1-line block ×8, first 2 shown]
	v_fma_f64 v[94:95], v[30:31], 2.0, -v[96:97]
	v_fma_f64 v[102:103], v[26:27], 2.0, -v[104:105]
	ds_write_b128 v46, v[74:77]
	ds_write_b128 v61, v[2:5]
	ds_write_b128 v66, v[10:13]
	ds_write_b128 v62, v[6:9]
	ds_write_b128 v63, v[36:39]
	ds_write_b128 v44, v[98:101]
	s_waitcnt lgkmcnt(0)
	; wave barrier
	s_waitcnt lgkmcnt(0)
	ds_read2_b64 v[0:3], v131 offset1:63
	ds_read2_b64 v[28:31], v136 offset0:118 offset1:181
	ds_read2_b64 v[8:11], v131 offset0:126 offset1:189
	ds_read2_b64 v[16:19], v82 offset0:116 offset1:179
	ds_read2_b64 v[24:27], v137 offset0:124 offset1:187
	ds_read2_b64 v[20:23], v138 offset0:114 offset1:177
	ds_read2_b64 v[36:39], v141 offset0:122 offset1:185
	ds_read2_b64 v[4:7], v139 offset0:112 offset1:175
	ds_read2_b64 v[40:43], v83 offset0:120 offset1:183
	ds_read2_b64 v[12:15], v140 offset0:110 offset1:173
	s_waitcnt lgkmcnt(0)
	; wave barrier
	s_waitcnt lgkmcnt(0)
	ds_write_b128 v46, v[78:81]
	ds_write_b128 v47, v[86:89]
	;; [unrolled: 1-line block ×10, first 2 shown]
	v_and_b32_e32 v52, 1, v120
	v_lshlrev_b32_e32 v32, 4, v52
	s_waitcnt lgkmcnt(0)
	; wave barrier
	s_waitcnt lgkmcnt(0)
	global_load_dwordx4 v[32:35], v32, s[8:9]
	v_and_b32_e32 v53, 1, v121
	v_lshlrev_b32_e32 v44, 4, v53
	global_load_dwordx4 v[60:63], v44, s[8:9]
	v_and_b32_e32 v54, 1, v132
	v_lshlrev_b32_e32 v44, 4, v54
	;; [unrolled: 3-line block ×5, first 2 shown]
	global_load_dwordx4 v[76:79], v44, s[8:9]
	ds_read2_b64 v[92:95], v136 offset0:118 offset1:181
	ds_read2_b64 v[100:103], v131 offset1:63
	ds_read2_b64 v[84:87], v131 offset0:126 offset1:189
	ds_read2_b64 v[108:111], v82 offset0:116 offset1:179
	;; [unrolled: 1-line block ×5, first 2 shown]
	s_movk_i32 s0, 0x7c
	v_lshlrev_b32_e32 v58, 1, v120
	v_and_or_b32 v58, v58, s0, v52
	v_lshl_add_u32 v142, v58, 3, 0
	ds_read2_b64 v[96:99], v141 offset0:122 offset1:185
	ds_read2_b64 v[116:119], v139 offset0:112 offset1:175
	;; [unrolled: 1-line block ×3, first 2 shown]
	s_waitcnt lgkmcnt(0)
	; wave barrier
	s_waitcnt lgkmcnt(0)
	s_movk_i32 s0, 0xfc
	s_movk_i32 s1, 0x2fc
	s_waitcnt vmcnt(5)
	v_mul_f64 v[44:45], v[92:93], v[34:35]
	v_mul_f64 v[48:49], v[108:109], v[34:35]
	s_waitcnt vmcnt(4)
	v_mul_f64 v[46:47], v[94:95], v[62:63]
	s_waitcnt vmcnt(3)
	v_mul_f64 v[50:51], v[110:111], v[70:71]
	v_fma_f64 v[44:45], v[28:29], v[32:33], v[44:45]
	v_fma_f64 v[48:49], v[16:17], v[32:33], v[48:49]
	;; [unrolled: 1-line block ×3, first 2 shown]
	v_add_f64 v[44:45], v[0:1], -v[44:45]
	v_add_f64 v[46:47], v[2:3], -v[46:47]
	v_fma_f64 v[0:1], v[0:1], 2.0, -v[44:45]
	ds_write2_b64 v142, v[0:1], v[44:45] offset1:2
	v_fma_f64 v[0:1], v[2:3], 2.0, -v[46:47]
	v_fma_f64 v[2:3], v[18:19], v[68:69], v[50:51]
	v_add_f64 v[44:45], v[8:9], -v[48:49]
	v_mul_f64 v[48:49], v[104:105], v[34:35]
	v_lshlrev_b32_e32 v50, 1, v121
	v_and_or_b32 v50, v50, s0, v53
	v_lshl_add_u32 v143, v50, 3, 0
	s_movk_i32 s0, 0x1fc
	ds_write2_b64 v143, v[0:1], v[46:47] offset1:2
	v_add_f64 v[0:1], v[10:11], -v[2:3]
	v_fma_f64 v[2:3], v[8:9], 2.0, -v[44:45]
	v_fma_f64 v[8:9], v[20:21], v[32:33], v[48:49]
	v_lshlrev_b32_e32 v48, 1, v130
	s_waitcnt vmcnt(2)
	v_mul_f64 v[46:47], v[106:107], v[66:67]
	v_and_or_b32 v48, v48, s0, v52
	v_lshl_add_u32 v144, v48, 3, 0
	v_lshlrev_b32_e32 v48, 1, v132
	v_fma_f64 v[10:11], v[10:11], 2.0, -v[0:1]
	ds_write2_b64 v144, v[2:3], v[44:45] offset1:2
	v_add_f64 v[2:3], v[24:25], -v[8:9]
	v_mul_f64 v[44:45], v[116:117], v[34:35]
	v_fma_f64 v[8:9], v[22:23], v[64:65], v[46:47]
	v_and_or_b32 v46, v48, s0, v54
	v_lshl_add_u32 v145, v46, 3, 0
	s_movk_i32 s0, 0x3fc
	ds_write2_b64 v145, v[10:11], v[0:1] offset1:2
	s_waitcnt vmcnt(1)
	v_mul_f64 v[10:11], v[118:119], v[74:75]
	v_fma_f64 v[0:1], v[24:25], 2.0, -v[2:3]
	v_fma_f64 v[24:25], v[4:5], v[32:33], v[44:45]
	v_lshlrev_b32_e32 v44, 1, v135
	v_and_or_b32 v44, v44, s0, v52
	v_add_f64 v[8:9], v[26:27], -v[8:9]
	v_lshl_add_u32 v146, v44, 3, 0
	v_mul_f64 v[44:45], v[112:113], v[34:35]
	v_lshlrev_b32_e32 v46, 1, v134
	ds_write2_b64 v146, v[0:1], v[2:3] offset1:2
	v_fma_f64 v[0:1], v[6:7], v[72:73], v[10:11]
	v_add_f64 v[10:11], v[36:37], -v[24:25]
	s_waitcnt vmcnt(0)
	v_mul_f64 v[24:25], v[114:115], v[78:79]
	v_fma_f64 v[2:3], v[26:27], 2.0, -v[8:9]
	v_fma_f64 v[26:27], v[12:13], v[32:33], v[44:45]
	v_and_or_b32 v44, v46, s1, v55
	v_lshl_add_u32 v147, v44, 3, 0
	v_add_f64 v[0:1], v[38:39], -v[0:1]
	v_fma_f64 v[36:37], v[36:37], 2.0, -v[10:11]
	v_fma_f64 v[24:25], v[14:15], v[76:77], v[24:25]
	ds_write2_b64 v147, v[2:3], v[8:9] offset1:2
	v_lshlrev_b32_e32 v8, 1, v133
	v_add_f64 v[2:3], v[40:41], -v[26:27]
	v_and_or_b32 v26, v8, s0, v52
	v_lshl_add_u32 v148, v26, 3, 0
	v_fma_f64 v[8:9], v[38:39], 2.0, -v[0:1]
	ds_write2_b64 v148, v[36:37], v[10:11] offset1:2
	v_add_f64 v[126:127], v[42:43], -v[24:25]
	v_lshlrev_b32_e32 v10, 1, v124
	v_and_or_b32 v24, v10, s0, v56
	v_lshl_add_u32 v149, v24, 3, 0
	v_fma_f64 v[10:11], v[40:41], 2.0, -v[2:3]
	s_movk_i32 s0, 0x7fc
	ds_write2_b64 v149, v[8:9], v[0:1] offset1:2
	v_lshlrev_b32_e32 v0, 1, v125
	v_fma_f64 v[124:125], v[42:43], 2.0, -v[126:127]
	v_and_or_b32 v0, v0, s0, v52
	v_lshl_add_u32 v150, v0, 3, 0
	v_lshlrev_b32_e32 v0, 1, v128
	s_movk_i32 s0, 0x4fc
	v_and_or_b32 v0, v0, s0, v57
	v_lshl_add_u32 v151, v0, 3, 0
	ds_write2_b64 v150, v[10:11], v[2:3] offset1:2
	ds_write2_b64 v151, v[124:125], v[126:127] offset1:2
	s_waitcnt lgkmcnt(0)
	; wave barrier
	s_waitcnt lgkmcnt(0)
	ds_read2_b64 v[8:11], v131 offset1:63
	ds_read2_b64 v[56:59], v141 offset0:164 offset1:227
	ds_read2_b64 v[52:55], v138 offset0:72 offset1:135
	ds_read2_b64 v[24:27], v131 offset0:126 offset1:189
	ds_read2_b64 v[48:51], v136 offset0:34 offset1:97
	ds_read2_b64 v[44:47], v139 offset0:70 offset1:133
	ds_read2_b64 v[0:3], v137 offset0:124 offset1:187
	ds_read2_b64 v[40:43], v136 offset0:160 offset1:223
	ds_read2_b64 v[36:39], v140 offset0:68 offset1:131
	v_cmp_gt_u32_e64 s[0:1], 42, v120
                                        ; implicit-def: $vgpr128_vgpr129
	s_and_saveexec_b64 s[4:5], s[0:1]
	s_cbranch_execz .LBB0_13
; %bb.12:
	ds_read_b64 v[124:125], v131 offset:3024
	ds_read_b64 v[126:127], v131 offset:6384
	;; [unrolled: 1-line block ×3, first 2 shown]
.LBB0_13:
	s_or_b64 exec, exec, s[4:5]
	v_mul_f64 v[28:29], v[28:29], v[34:35]
	v_mul_f64 v[30:31], v[30:31], v[62:63]
	;; [unrolled: 1-line block ×9, first 2 shown]
	v_fma_f64 v[28:29], v[92:93], v[32:33], -v[28:29]
	v_mul_f64 v[14:15], v[14:15], v[78:79]
	v_fma_f64 v[30:31], v[94:95], v[60:61], -v[30:31]
	v_fma_f64 v[16:17], v[108:109], v[32:33], -v[16:17]
	;; [unrolled: 1-line block ×8, first 2 shown]
	v_add_f64 v[28:29], v[100:101], -v[28:29]
	v_fma_f64 v[14:15], v[114:115], v[76:77], -v[14:15]
	v_add_f64 v[30:31], v[102:103], -v[30:31]
	v_add_f64 v[16:17], v[84:85], -v[16:17]
	;; [unrolled: 1-line block ×8, first 2 shown]
	v_fma_f64 v[32:33], v[100:101], 2.0, -v[28:29]
	v_add_f64 v[72:73], v[82:83], -v[14:15]
	v_fma_f64 v[34:35], v[102:103], 2.0, -v[30:31]
	v_fma_f64 v[14:15], v[84:85], 2.0, -v[16:17]
	;; [unrolled: 1-line block ×9, first 2 shown]
	s_waitcnt lgkmcnt(0)
	; wave barrier
	s_waitcnt lgkmcnt(0)
	ds_write2_b64 v142, v[32:33], v[28:29] offset1:2
	ds_write2_b64 v143, v[34:35], v[30:31] offset1:2
	;; [unrolled: 1-line block ×10, first 2 shown]
	s_waitcnt lgkmcnt(0)
	; wave barrier
	s_waitcnt lgkmcnt(0)
	ds_read2_b64 v[20:23], v131 offset1:63
	ds_read2_b64 v[68:71], v141 offset0:164 offset1:227
	ds_read2_b64 v[64:67], v138 offset0:72 offset1:135
	;; [unrolled: 1-line block ×8, first 2 shown]
                                        ; implicit-def: $vgpr76_vgpr77
	s_and_saveexec_b64 s[4:5], s[0:1]
	s_cbranch_execz .LBB0_15
; %bb.14:
	ds_read_b64 v[74:75], v131 offset:3024
	ds_read_b64 v[72:73], v131 offset:6384
	;; [unrolled: 1-line block ×3, first 2 shown]
.LBB0_15:
	s_or_b64 exec, exec, s[4:5]
	v_and_b32_e32 v188, 3, v120
	v_and_b32_e32 v189, 3, v121
	v_lshlrev_b32_e32 v82, 5, v188
	v_lshlrev_b32_e32 v90, 5, v189
	v_and_b32_e32 v190, 3, v130
	global_load_dwordx4 v[78:81], v82, s[8:9] offset:32
	global_load_dwordx4 v[113:116], v82, s[8:9] offset:48
	s_nop 0
	global_load_dwordx4 v[82:85], v90, s[8:9] offset:32
	global_load_dwordx4 v[86:89], v90, s[8:9] offset:48
	v_lshlrev_b32_e32 v90, 5, v190
	v_and_b32_e32 v191, 3, v132
	global_load_dwordx4 v[92:95], v90, s[8:9] offset:32
	global_load_dwordx4 v[96:99], v90, s[8:9] offset:48
	v_lshlrev_b32_e32 v90, 5, v191
	global_load_dwordx4 v[136:139], v90, s[8:9] offset:32
	global_load_dwordx4 v[140:143], v90, s[8:9] offset:48
	v_and_b32_e32 v192, 3, v134
	v_lshlrev_b32_e32 v90, 5, v192
	global_load_dwordx4 v[144:147], v90, s[8:9] offset:32
	global_load_dwordx4 v[148:151], v90, s[8:9] offset:48
	v_and_b32_e32 v112, 3, v133
	v_lshlrev_b32_e32 v90, 5, v112
	global_load_dwordx4 v[152:155], v90, s[8:9] offset:32
	global_load_dwordx4 v[156:159], v90, s[8:9] offset:48
	s_mov_b32 s4, 0xe8584caa
	s_mov_b32 s5, 0xbfebb67a
	;; [unrolled: 1-line block ×4, first 2 shown]
	s_waitcnt lgkmcnt(0)
	; wave barrier
	s_waitcnt vmcnt(11) lgkmcnt(0)
	v_mul_f64 v[90:91], v[68:69], v[80:81]
	v_mul_f64 v[100:101], v[56:57], v[80:81]
	s_waitcnt vmcnt(10)
	v_mul_f64 v[102:103], v[64:65], v[115:116]
	v_mul_f64 v[104:105], v[52:53], v[115:116]
	s_waitcnt vmcnt(9)
	;; [unrolled: 3-line block ×5, first 2 shown]
	v_mul_f64 v[166:167], v[32:33], v[98:99]
	s_waitcnt vmcnt(5)
	v_mul_f64 v[170:171], v[62:63], v[138:139]
	s_waitcnt vmcnt(4)
	v_mul_f64 v[172:173], v[34:35], v[142:143]
	v_mul_f64 v[168:169], v[44:45], v[98:99]
	;; [unrolled: 1-line block ×6, first 2 shown]
	s_waitcnt vmcnt(3)
	v_mul_f64 v[180:181], v[30:31], v[146:147]
	s_waitcnt vmcnt(2)
	v_mul_f64 v[182:183], v[14:15], v[150:151]
	v_mul_f64 v[150:151], v[38:39], v[150:151]
	v_fma_f64 v[106:107], v[56:57], v[78:79], v[90:91]
	v_fma_f64 v[110:111], v[68:69], v[78:79], -v[100:101]
	v_fma_f64 v[108:109], v[52:53], v[113:114], v[102:103]
	v_fma_f64 v[88:89], v[64:65], v[113:114], -v[104:105]
	;; [unrolled: 2-line block ×5, first 2 shown]
	v_fma_f64 v[94:95], v[44:45], v[96:97], v[166:167]
	v_fma_f64 v[86:87], v[50:51], v[136:137], v[170:171]
	;; [unrolled: 1-line block ×3, first 2 shown]
	s_waitcnt vmcnt(1)
	v_mul_f64 v[184:185], v[72:73], v[154:155]
	s_waitcnt vmcnt(0)
	v_mul_f64 v[186:187], v[76:77], v[158:159]
	v_mul_f64 v[176:177], v[40:41], v[80:81]
	;; [unrolled: 1-line block ×6, first 2 shown]
	v_fma_f64 v[82:83], v[32:33], v[96:97], -v[168:169]
	v_fma_f64 v[96:97], v[62:63], v[136:137], -v[138:139]
	;; [unrolled: 1-line block ×3, first 2 shown]
	v_fma_f64 v[54:55], v[40:41], v[78:79], v[174:175]
	v_fma_f64 v[58:59], v[36:37], v[113:114], v[178:179]
	;; [unrolled: 1-line block ×4, first 2 shown]
	v_fma_f64 v[50:51], v[14:15], v[148:149], -v[150:151]
	v_add_f64 v[14:15], v[106:107], v[108:109]
	v_add_f64 v[32:33], v[100:101], v[102:103]
	;; [unrolled: 1-line block ×4, first 2 shown]
	v_fma_f64 v[60:61], v[126:127], v[152:153], v[184:185]
	v_fma_f64 v[68:69], v[128:129], v[156:157], v[186:187]
	v_fma_f64 v[62:63], v[28:29], v[78:79], -v[176:177]
	v_fma_f64 v[48:49], v[12:13], v[113:114], -v[115:116]
	;; [unrolled: 1-line block ×5, first 2 shown]
	v_add_f64 v[12:13], v[8:9], v[106:107]
	v_add_f64 v[28:29], v[110:111], -v[88:89]
	v_add_f64 v[30:31], v[10:11], v[100:101]
	v_add_f64 v[34:35], v[104:105], -v[84:85]
	;; [unrolled: 2-line block ×4, first 2 shown]
	v_add_f64 v[72:73], v[54:55], v[58:59]
	v_add_f64 v[76:77], v[56:57], v[64:65]
	v_fma_f64 v[8:9], v[14:15], -0.5, v[8:9]
	v_fma_f64 v[10:11], v[32:33], -0.5, v[10:11]
	;; [unrolled: 1-line block ×4, first 2 shown]
	v_add_f64 v[78:79], v[60:61], v[68:69]
	v_add_f64 v[14:15], v[30:31], v[102:103]
	;; [unrolled: 1-line block ×4, first 2 shown]
	v_fma_f64 v[36:37], v[28:29], s[4:5], v[8:9]
	v_fma_f64 v[8:9], v[28:29], s[6:7], v[8:9]
	;; [unrolled: 1-line block ×8, first 2 shown]
	v_add_f64 v[40:41], v[0:1], v[54:55]
	v_fma_f64 v[0:1], v[72:73], -0.5, v[0:1]
	v_add_f64 v[42:43], v[62:63], -v[48:49]
	v_add_f64 v[44:45], v[2:3], v[56:57]
	v_fma_f64 v[2:3], v[76:77], -0.5, v[2:3]
	v_add_f64 v[46:47], v[66:67], -v[50:51]
	v_fma_f64 v[76:77], v[78:79], -0.5, v[124:125]
	v_add_f64 v[113:114], v[70:71], -v[52:53]
	v_add_f64 v[12:13], v[12:13], v[108:109]
	v_add_f64 v[72:73], v[124:125], v[60:61]
	v_fma_f64 v[118:119], v[42:43], s[4:5], v[0:1]
	v_fma_f64 v[0:1], v[42:43], s[6:7], v[0:1]
	v_add_f64 v[42:43], v[44:45], v[64:65]
	v_fma_f64 v[44:45], v[46:47], s[4:5], v[2:3]
	v_fma_f64 v[2:3], v[46:47], s[6:7], v[2:3]
	v_lshrrev_b32_e32 v46, 2, v120
	v_mul_u32_u24_e32 v46, 12, v46
	v_or_b32_e32 v46, v46, v188
	v_fma_f64 v[78:79], v[113:114], s[4:5], v[76:77]
	v_fma_f64 v[76:77], v[113:114], s[6:7], v[76:77]
	v_lshl_add_u32 v113, v46, 3, 0
	ds_write2_b64 v113, v[12:13], v[36:37] offset1:4
	ds_write_b64 v113, v[8:9] offset:64
	v_lshrrev_b32_e32 v8, 2, v121
	v_mul_u32_u24_e32 v8, 12, v8
	v_or_b32_e32 v8, v8, v189
	v_lshl_add_u32 v114, v8, 3, 0
	v_lshrrev_b32_e32 v8, 2, v130
	v_mul_u32_u24_e32 v8, 12, v8
	v_add_f64 v[40:41], v[40:41], v[58:59]
	v_or_b32_e32 v8, v8, v190
	v_lshl_add_u32 v115, v8, 3, 0
	v_lshrrev_b32_e32 v8, 2, v132
	v_mul_u32_u24_e32 v8, 12, v8
	v_or_b32_e32 v8, v8, v191
	v_add_f64 v[72:73], v[72:73], v[68:69]
	v_lshl_add_u32 v116, v8, 3, 0
	v_lshrrev_b32_e32 v8, 2, v135
	v_mul_u32_u24_e32 v8, 12, v8
	v_or_b32_e32 v8, v8, v188
	v_lshl_add_u32 v117, v8, 3, 0
	ds_write2_b64 v114, v[14:15], v[28:29] offset1:4
	ds_write_b64 v114, v[10:11] offset:64
	ds_write2_b64 v115, v[30:31], v[34:35] offset1:4
	ds_write_b64 v115, v[24:25] offset:64
	ds_write2_b64 v116, v[32:33], v[38:39] offset1:4
	ds_write_b64 v116, v[26:27] offset:64
	ds_write2_b64 v117, v[40:41], v[118:119] offset1:4
	ds_write_b64 v117, v[0:1] offset:64
	v_lshrrev_b32_e32 v0, 2, v134
	v_mul_u32_u24_e32 v0, 12, v0
	v_or_b32_e32 v0, v0, v192
	v_lshl_add_u32 v119, v0, 3, 0
	v_lshrrev_b32_e32 v118, 2, v133
	ds_write2_b64 v119, v[42:43], v[44:45] offset1:4
	ds_write_b64 v119, v[2:3] offset:64
	s_and_saveexec_b64 s[4:5], s[0:1]
	s_cbranch_execz .LBB0_17
; %bb.16:
	v_mul_u32_u24_e32 v0, 12, v118
	v_or_b32_e32 v0, v0, v112
	v_lshl_add_u32 v0, v0, 3, 0
	ds_write2_b64 v0, v[72:73], v[78:79] offset1:4
	ds_write_b64 v0, v[76:77] offset:64
.LBB0_17:
	s_or_b64 exec, exec, s[4:5]
	v_add_u32_e32 v0, 0x800, v131
	s_waitcnt lgkmcnt(0)
	; wave barrier
	s_waitcnt lgkmcnt(0)
	ds_read2_b64 v[40:43], v0 offset0:164 offset1:227
	v_add_u32_e32 v0, 0x1800, v131
	ds_read2_b64 v[12:15], v131 offset1:63
	ds_read2_b64 v[44:47], v0 offset0:72 offset1:135
	ds_read2_b64 v[8:11], v131 offset0:126 offset1:189
	v_add_u32_e32 v0, 0x1c00, v131
	v_add_u32_e32 v24, 0x1000, v131
	ds_read2_b64 v[36:39], v0 offset0:70 offset1:133
	v_add_u32_e32 v0, 0x400, v131
	v_add_u32_e32 v28, 0x2000, v131
	ds_read2_b64 v[32:35], v24 offset0:34 offset1:97
	ds_read2_b64 v[0:3], v0 offset0:124 offset1:187
	;; [unrolled: 1-line block ×4, first 2 shown]
	s_and_saveexec_b64 s[4:5], s[0:1]
	s_cbranch_execz .LBB0_19
; %bb.18:
	ds_read_b64 v[72:73], v131 offset:3024
	ds_read_b64 v[78:79], v131 offset:6384
	;; [unrolled: 1-line block ×3, first 2 shown]
.LBB0_19:
	s_or_b64 exec, exec, s[4:5]
	v_add_f64 v[124:125], v[110:111], v[88:89]
	v_add_f64 v[110:111], v[20:21], v[110:111]
	v_add_f64 v[100:101], v[100:101], -v[102:103]
	v_add_f64 v[102:103], v[98:99], v[82:83]
	v_add_f64 v[98:99], v[16:17], v[98:99]
	v_add_f64 v[90:91], v[90:91], -v[94:95]
	v_add_f64 v[86:87], v[86:87], -v[92:93]
	s_mov_b32 s4, 0xe8584caa
	v_fma_f64 v[20:21], v[124:125], -0.5, v[20:21]
	v_add_f64 v[124:125], v[96:97], v[80:81]
	v_add_f64 v[96:97], v[18:19], v[96:97]
	v_fma_f64 v[16:17], v[102:103], -0.5, v[16:17]
	s_mov_b32 s5, 0x3febb67a
	s_mov_b32 s7, 0xbfebb67a
	;; [unrolled: 1-line block ×3, first 2 shown]
	v_add_f64 v[92:93], v[98:99], v[82:83]
	v_add_f64 v[106:107], v[106:107], -v[108:109]
	v_fma_f64 v[18:19], v[124:125], -0.5, v[18:19]
	v_add_f64 v[108:109], v[104:105], v[84:85]
	v_fma_f64 v[98:99], v[90:91], s[4:5], v[16:17]
	v_fma_f64 v[16:17], v[90:91], s[6:7], v[16:17]
	v_add_f64 v[90:91], v[96:97], v[80:81]
	v_add_f64 v[82:83], v[62:63], v[48:49]
	;; [unrolled: 1-line block ×3, first 2 shown]
	v_add_f64 v[54:55], v[54:55], -v[58:59]
	v_fma_f64 v[96:97], v[86:87], s[4:5], v[18:19]
	v_fma_f64 v[18:19], v[86:87], s[6:7], v[18:19]
	v_add_f64 v[86:87], v[70:71], v[52:53]
	v_add_f64 v[58:59], v[6:7], v[66:67]
	v_add_f64 v[56:57], v[56:57], -v[64:65]
	v_add_f64 v[64:65], v[74:75], v[70:71]
	v_add_f64 v[60:61], v[60:61], -v[68:69]
	v_add_f64 v[104:105], v[22:23], v[104:105]
	v_fma_f64 v[22:23], v[108:109], -0.5, v[22:23]
	v_add_f64 v[88:89], v[110:111], v[88:89]
	v_fma_f64 v[66:67], v[86:87], -0.5, v[74:75]
	v_fma_f64 v[108:109], v[106:107], s[4:5], v[20:21]
	v_add_f64 v[62:63], v[4:5], v[62:63]
	v_fma_f64 v[4:5], v[82:83], -0.5, v[4:5]
	v_fma_f64 v[6:7], v[80:81], -0.5, v[6:7]
	v_add_f64 v[74:75], v[64:65], v[52:53]
	v_fma_f64 v[20:21], v[106:107], s[6:7], v[20:21]
	v_add_f64 v[84:85], v[104:105], v[84:85]
	v_fma_f64 v[82:83], v[60:61], s[4:5], v[66:67]
	v_fma_f64 v[80:81], v[60:61], s[6:7], v[66:67]
	;; [unrolled: 1-line block ×4, first 2 shown]
	v_add_f64 v[48:49], v[62:63], v[48:49]
	v_fma_f64 v[62:63], v[54:55], s[4:5], v[4:5]
	v_fma_f64 v[4:5], v[54:55], s[6:7], v[4:5]
	v_add_f64 v[50:51], v[58:59], v[50:51]
	v_fma_f64 v[54:55], v[56:57], s[4:5], v[6:7]
	v_fma_f64 v[6:7], v[56:57], s[6:7], v[6:7]
	s_waitcnt lgkmcnt(0)
	; wave barrier
	s_waitcnt lgkmcnt(0)
	ds_write2_b64 v113, v[88:89], v[108:109] offset1:4
	ds_write_b64 v113, v[20:21] offset:64
	ds_write2_b64 v114, v[84:85], v[94:95] offset1:4
	ds_write_b64 v114, v[22:23] offset:64
	;; [unrolled: 2-line block ×6, first 2 shown]
	s_and_saveexec_b64 s[4:5], s[0:1]
	s_cbranch_execz .LBB0_21
; %bb.20:
	v_mul_u32_u24_e32 v4, 12, v118
	v_or_b32_e32 v4, v4, v112
	v_lshl_add_u32 v4, v4, 3, 0
	ds_write2_b64 v4, v[74:75], v[82:83] offset1:4
	ds_write_b64 v4, v[80:81] offset:64
.LBB0_21:
	s_or_b64 exec, exec, s[4:5]
	v_add_u32_e32 v4, 0x800, v131
	s_waitcnt lgkmcnt(0)
	; wave barrier
	s_waitcnt lgkmcnt(0)
	ds_read2_b64 v[64:67], v4 offset0:164 offset1:227
	v_add_u32_e32 v4, 0x1800, v131
	ds_read2_b64 v[20:23], v131 offset1:63
	ds_read2_b64 v[68:71], v4 offset0:72 offset1:135
	ds_read2_b64 v[16:19], v131 offset0:126 offset1:189
	v_add_u32_e32 v4, 0x1c00, v131
	v_add_u32_e32 v48, 0x1000, v131
	ds_read2_b64 v[60:63], v4 offset0:70 offset1:133
	v_add_u32_e32 v4, 0x400, v131
	v_add_u32_e32 v52, 0x2000, v131
	ds_read2_b64 v[56:59], v48 offset0:34 offset1:97
	ds_read2_b64 v[4:7], v4 offset0:124 offset1:187
	;; [unrolled: 1-line block ×4, first 2 shown]
	s_and_saveexec_b64 s[4:5], s[0:1]
	s_cbranch_execz .LBB0_23
; %bb.22:
	ds_read_b64 v[74:75], v131 offset:3024
	ds_read_b64 v[82:83], v131 offset:6384
	;; [unrolled: 1-line block ×3, first 2 shown]
.LBB0_23:
	s_or_b64 exec, exec, s[4:5]
	s_movk_i32 s4, 0xab
	v_mul_lo_u16_sdwa v84, v120, s4 dst_sel:DWORD dst_unused:UNUSED_PAD src0_sel:BYTE_0 src1_sel:DWORD
	v_lshrrev_b16_e32 v177, 11, v84
	v_mul_lo_u16_e32 v84, 12, v177
	v_sub_u16_e32 v178, v120, v84
	v_mov_b32_e32 v92, 5
	v_lshlrev_b32_sdwa v93, v92, v178 dst_sel:DWORD dst_unused:UNUSED_PAD src0_sel:DWORD src1_sel:BYTE_0
	global_load_dwordx4 v[84:87], v93, s[8:9] offset:176
	global_load_dwordx4 v[88:91], v93, s[8:9] offset:160
	v_mul_lo_u16_sdwa v93, v121, s4 dst_sel:DWORD dst_unused:UNUSED_PAD src0_sel:BYTE_0 src1_sel:DWORD
	v_lshrrev_b16_e32 v179, 11, v93
	v_mul_lo_u16_e32 v93, 12, v179
	v_sub_u16_e32 v180, v121, v93
	v_lshlrev_b32_sdwa v93, v92, v180 dst_sel:DWORD dst_unused:UNUSED_PAD src0_sel:DWORD src1_sel:BYTE_0
	global_load_dwordx4 v[98:101], v93, s[8:9] offset:176
	global_load_dwordx4 v[94:97], v93, s[8:9] offset:160
	v_mul_lo_u16_sdwa v93, v130, s4 dst_sel:DWORD dst_unused:UNUSED_PAD src0_sel:BYTE_0 src1_sel:DWORD
	v_lshrrev_b16_e32 v181, 11, v93
	v_mul_lo_u16_e32 v93, 12, v181
	v_sub_u16_e32 v182, v130, v93
	;; [unrolled: 7-line block ×3, first 2 shown]
	v_lshlrev_b32_sdwa v92, v92, v184 dst_sel:DWORD dst_unused:UNUSED_PAD src0_sel:DWORD src1_sel:BYTE_0
	s_mov_b32 s4, 0xaaab
	global_load_dwordx4 v[110:113], v92, s[8:9] offset:176
	global_load_dwordx4 v[114:117], v92, s[8:9] offset:160
	v_mul_u32_u24_sdwa v92, v135, s4 dst_sel:DWORD dst_unused:UNUSED_PAD src0_sel:WORD_0 src1_sel:DWORD
	v_lshrrev_b32_e32 v185, 19, v92
	v_mul_lo_u16_e32 v92, 12, v185
	v_sub_u16_e32 v186, v135, v92
	v_lshlrev_b32_e32 v92, 5, v186
	global_load_dwordx4 v[124:127], v92, s[8:9] offset:176
	global_load_dwordx4 v[135:138], v92, s[8:9] offset:160
	v_mul_u32_u24_sdwa v92, v134, s4 dst_sel:DWORD dst_unused:UNUSED_PAD src0_sel:WORD_0 src1_sel:DWORD
	v_lshrrev_b32_e32 v187, 19, v92
	v_mul_lo_u16_e32 v92, 12, v187
	v_sub_u16_e32 v188, v134, v92
	v_lshlrev_b32_e32 v92, 5, v188
	;; [unrolled: 7-line block ×3, first 2 shown]
	global_load_dwordx4 v[147:150], v92, s[8:9] offset:160
	global_load_dwordx4 v[151:154], v92, s[8:9] offset:176
	s_mov_b32 s6, 0xe8584caa
	s_mov_b32 s7, 0xbfebb67a
	;; [unrolled: 1-line block ×4, first 2 shown]
	s_waitcnt lgkmcnt(0)
	; wave barrier
	s_waitcnt vmcnt(13) lgkmcnt(0)
	v_mul_f64 v[118:119], v[68:69], v[86:87]
	s_waitcnt vmcnt(12)
	v_mul_f64 v[92:93], v[64:65], v[90:91]
	v_mul_f64 v[90:91], v[40:41], v[90:91]
	;; [unrolled: 1-line block ×3, first 2 shown]
	s_waitcnt vmcnt(11)
	v_mul_f64 v[155:156], v[70:71], v[100:101]
	s_waitcnt vmcnt(10)
	v_mul_f64 v[133:134], v[66:67], v[96:97]
	v_mul_f64 v[96:97], v[42:43], v[96:97]
	;; [unrolled: 1-line block ×3, first 2 shown]
	v_fma_f64 v[86:87], v[40:41], v[88:89], v[92:93]
	v_fma_f64 v[90:91], v[64:65], v[88:89], -v[90:91]
	s_waitcnt vmcnt(9)
	v_mul_f64 v[159:160], v[60:61], v[104:105]
	s_waitcnt vmcnt(8)
	v_mul_f64 v[157:158], v[56:57], v[108:109]
	v_fma_f64 v[92:93], v[44:45], v[84:85], v[118:119]
	v_fma_f64 v[88:89], v[42:43], v[94:95], v[133:134]
	v_fma_f64 v[96:97], v[66:67], v[94:95], -v[96:97]
	v_fma_f64 v[94:95], v[46:47], v[98:99], v[155:156]
	v_mul_f64 v[108:109], v[32:33], v[108:109]
	s_waitcnt vmcnt(7)
	v_mul_f64 v[163:164], v[62:63], v[112:113]
	v_mul_f64 v[112:113], v[38:39], v[112:113]
	;; [unrolled: 1-line block ×3, first 2 shown]
	s_waitcnt vmcnt(6)
	v_mul_f64 v[161:162], v[58:59], v[116:117]
	v_fma_f64 v[64:65], v[68:69], v[84:85], -v[128:129]
	v_fma_f64 v[66:67], v[70:71], v[98:99], -v[100:101]
	v_fma_f64 v[68:69], v[32:33], v[106:107], v[157:158]
	s_waitcnt vmcnt(4)
	v_mul_f64 v[165:166], v[48:49], v[137:138]
	v_mul_f64 v[137:138], v[24:25], v[137:138]
	v_fma_f64 v[70:71], v[36:37], v[102:103], v[159:160]
	v_fma_f64 v[42:43], v[62:63], v[110:111], -v[112:113]
	v_add_f64 v[62:63], v[88:89], v[94:95]
	v_mul_f64 v[116:117], v[34:35], v[116:117]
	v_mul_f64 v[167:168], v[52:53], v[126:127]
	;; [unrolled: 1-line block ×3, first 2 shown]
	s_waitcnt vmcnt(2)
	v_mul_f64 v[169:170], v[50:51], v[145:146]
	v_mul_f64 v[171:172], v[54:55], v[141:142]
	;; [unrolled: 1-line block ×3, first 2 shown]
	v_add_f64 v[40:41], v[86:87], v[92:93]
	s_waitcnt vmcnt(0)
	v_mul_f64 v[175:176], v[80:81], v[153:154]
	v_mul_f64 v[153:154], v[76:77], v[153:154]
	;; [unrolled: 1-line block ×5, first 2 shown]
	v_fma_f64 v[84:85], v[56:57], v[106:107], -v[108:109]
	v_fma_f64 v[46:47], v[60:61], v[102:103], -v[104:105]
	v_fma_f64 v[56:57], v[34:35], v[114:115], v[161:162]
	v_fma_f64 v[36:37], v[48:49], v[135:136], -v[137:138]
	v_fma_f64 v[44:45], v[76:77], v[151:152], v[175:176]
	v_fma_f64 v[48:49], v[80:81], v[151:152], -v[153:154]
	v_add_f64 v[76:77], v[14:15], v[88:89]
	v_add_f64 v[80:81], v[68:69], v[70:71]
	v_fma_f64 v[14:15], v[62:63], -0.5, v[14:15]
	v_add_f64 v[62:63], v[96:97], -v[66:67]
	v_fma_f64 v[60:61], v[58:59], v[114:115], -v[116:117]
	v_fma_f64 v[58:59], v[38:39], v[110:111], v[163:164]
	v_fma_f64 v[32:33], v[24:25], v[135:136], v[165:166]
	v_fma_f64 v[24:25], v[52:53], v[124:125], -v[126:127]
	v_fma_f64 v[34:35], v[26:27], v[143:144], v[169:170]
	v_fma_f64 v[26:27], v[54:55], v[139:140], -v[141:142]
	v_add_f64 v[52:53], v[90:91], -v[64:65]
	v_fma_f64 v[54:55], v[40:41], -0.5, v[12:13]
	v_fma_f64 v[28:29], v[28:29], v[124:125], v[167:168]
	v_fma_f64 v[38:39], v[50:51], v[143:144], -v[145:146]
	v_fma_f64 v[30:31], v[30:31], v[139:140], v[171:172]
	v_add_f64 v[50:51], v[12:13], v[86:87]
	v_fma_f64 v[40:41], v[78:79], v[147:148], v[173:174]
	v_fma_f64 v[12:13], v[82:83], v[147:148], -v[149:150]
	v_add_f64 v[82:83], v[8:9], v[68:69]
	v_fma_f64 v[8:9], v[80:81], -0.5, v[8:9]
	v_add_f64 v[80:81], v[84:85], -v[46:47]
	v_fma_f64 v[98:99], v[62:63], s[6:7], v[14:15]
	v_fma_f64 v[14:15], v[62:63], s[4:5], v[14:15]
	v_add_f64 v[62:63], v[10:11], v[56:57]
	v_fma_f64 v[78:79], v[52:53], s[6:7], v[54:55]
	v_fma_f64 v[52:53], v[52:53], s[4:5], v[54:55]
	v_add_f64 v[54:55], v[56:57], v[58:59]
	v_add_f64 v[100:101], v[32:33], v[28:29]
	v_fma_f64 v[102:103], v[80:81], s[6:7], v[8:9]
	v_fma_f64 v[8:9], v[80:81], s[4:5], v[8:9]
	v_add_f64 v[80:81], v[34:35], v[30:31]
	v_add_f64 v[104:105], v[62:63], v[58:59]
	;; [unrolled: 1-line block ×4, first 2 shown]
	v_fma_f64 v[10:11], v[54:55], -0.5, v[10:11]
	v_add_f64 v[54:55], v[60:61], -v[42:43]
	v_add_f64 v[108:109], v[0:1], v[32:33]
	v_fma_f64 v[100:101], v[100:101], -0.5, v[0:1]
	v_add_f64 v[110:111], v[36:37], -v[24:25]
	v_add_f64 v[112:113], v[2:3], v[34:35]
	v_fma_f64 v[80:81], v[80:81], -0.5, v[2:3]
	v_add_f64 v[114:115], v[38:39], -v[26:27]
	v_fma_f64 v[0:1], v[62:63], -0.5, v[72:73]
	v_add_f64 v[2:3], v[12:13], -v[48:49]
	v_add_f64 v[76:77], v[76:77], v[94:95]
	v_add_f64 v[82:83], v[82:83], v[70:71]
	v_mov_b32_e32 v118, 3
	v_fma_f64 v[106:107], v[54:55], s[6:7], v[10:11]
	v_fma_f64 v[10:11], v[54:55], s[4:5], v[10:11]
	v_mul_u32_u24_e32 v54, 0x120, v177
	v_lshlrev_b32_sdwa v55, v118, v178 dst_sel:DWORD dst_unused:UNUSED_PAD src0_sel:DWORD src1_sel:BYTE_0
	v_add3_u32 v55, 0, v54, v55
	v_add_f64 v[108:109], v[108:109], v[28:29]
	v_fma_f64 v[116:117], v[110:111], s[6:7], v[100:101]
	v_fma_f64 v[100:101], v[110:111], s[4:5], v[100:101]
	v_add_f64 v[110:111], v[112:113], v[30:31]
	v_fma_f64 v[112:113], v[114:115], s[6:7], v[80:81]
	v_fma_f64 v[114:115], v[114:115], s[4:5], v[80:81]
	;; [unrolled: 1-line block ×3, first 2 shown]
	ds_write2_b64 v55, v[50:51], v[78:79] offset1:12
	ds_write_b64 v55, v[52:53] offset:192
	v_mul_u32_u24_e32 v50, 0x120, v179
	v_lshlrev_b32_sdwa v51, v118, v180 dst_sel:DWORD dst_unused:UNUSED_PAD src0_sel:DWORD src1_sel:BYTE_0
	v_add3_u32 v62, 0, v50, v51
	ds_write2_b64 v62, v[76:77], v[98:99] offset1:12
	ds_write_b64 v62, v[14:15] offset:192
	v_mul_u32_u24_e32 v14, 0x120, v181
	v_lshlrev_b32_sdwa v15, v118, v182 dst_sel:DWORD dst_unused:UNUSED_PAD src0_sel:DWORD src1_sel:BYTE_0
	v_add3_u32 v63, 0, v14, v15
	;; [unrolled: 5-line block ×3, first 2 shown]
	v_mul_u32_u24_e32 v8, 0x120, v185
	v_lshlrev_b32_e32 v9, 3, v186
	v_add3_u32 v79, 0, v8, v9
	v_mul_u32_u24_e32 v8, 0x120, v187
	v_lshlrev_b32_e32 v9, 3, v188
	v_add3_u32 v98, 0, v8, v9
	v_mul_lo_u16_e32 v76, 36, v189
	v_lshlrev_b32_e32 v77, 3, v190
	ds_write2_b64 v78, v[104:105], v[106:107] offset1:12
	ds_write_b64 v78, v[10:11] offset:192
	ds_write2_b64 v79, v[108:109], v[116:117] offset1:12
	ds_write_b64 v79, v[100:101] offset:192
	;; [unrolled: 2-line block ×3, first 2 shown]
	s_and_saveexec_b64 s[10:11], s[0:1]
	s_cbranch_execz .LBB0_25
; %bb.24:
	v_mul_f64 v[2:3], v[2:3], s[4:5]
	v_add_f64 v[8:9], v[72:73], v[40:41]
	v_add_f64 v[0:1], v[0:1], -v[2:3]
	v_add_f64 v[2:3], v[8:9], v[44:45]
	v_lshlrev_b32_e32 v8, 3, v76
	v_add3_u32 v8, 0, v77, v8
	ds_write2_b64 v8, v[2:3], v[0:1] offset1:12
	ds_write_b64 v8, v[80:81] offset:192
.LBB0_25:
	s_or_b64 exec, exec, s[10:11]
	v_add_f64 v[0:1], v[90:91], v[64:65]
	v_add_f64 v[2:3], v[96:97], v[66:67]
	v_add_f64 v[10:11], v[86:87], -v[92:93]
	v_add_f64 v[8:9], v[20:21], v[90:91]
	v_add_f64 v[52:53], v[84:85], v[46:47]
	v_add_f64 v[14:15], v[22:23], v[96:97]
	v_add_f64 v[50:51], v[88:89], -v[94:95]
	v_add_u32_e32 v54, 0x1c00, v131
	v_fma_f64 v[0:1], v[0:1], -0.5, v[20:21]
	v_fma_f64 v[2:3], v[2:3], -0.5, v[22:23]
	v_add_f64 v[22:23], v[68:69], -v[70:71]
	v_add_f64 v[64:65], v[8:9], v[64:65]
	v_fma_f64 v[8:9], v[52:53], -0.5, v[16:17]
	v_add_f64 v[20:21], v[16:17], v[84:85]
	v_add_f64 v[68:69], v[60:61], v[42:43]
	;; [unrolled: 1-line block ×3, first 2 shown]
	v_fma_f64 v[70:71], v[10:11], s[4:5], v[0:1]
	v_fma_f64 v[72:73], v[10:11], s[6:7], v[0:1]
	v_add_f64 v[0:1], v[18:19], v[60:61]
	v_add_f64 v[14:15], v[36:37], v[24:25]
	v_add_f64 v[10:11], v[56:57], -v[58:59]
	v_fma_f64 v[56:57], v[22:23], s[4:5], v[8:9]
	v_fma_f64 v[58:59], v[22:23], s[6:7], v[8:9]
	v_add_f64 v[8:9], v[38:39], v[26:27]
	v_fma_f64 v[84:85], v[50:51], s[4:5], v[2:3]
	v_fma_f64 v[86:87], v[50:51], s[6:7], v[2:3]
	v_add_f64 v[60:61], v[0:1], v[42:43]
	v_add_f64 v[0:1], v[12:13], v[48:49]
	v_fma_f64 v[2:3], v[68:69], -0.5, v[18:19]
	v_add_f64 v[18:19], v[20:21], v[46:47]
	v_add_f64 v[20:21], v[4:5], v[36:37]
	v_fma_f64 v[4:5], v[14:15], -0.5, v[4:5]
	v_add_f64 v[16:17], v[40:41], -v[44:45]
	v_add_f64 v[22:23], v[32:33], -v[28:29]
	v_add_f64 v[28:29], v[6:7], v[38:39]
	v_fma_f64 v[14:15], v[0:1], -0.5, v[74:75]
	v_fma_f64 v[6:7], v[8:9], -0.5, v[6:7]
	v_add_f64 v[8:9], v[34:35], -v[30:31]
	v_add_u32_e32 v52, 0x400, v131
	v_add_u32_e32 v53, 0xc00, v131
	;; [unrolled: 1-line block ×5, first 2 shown]
	v_fma_f64 v[82:83], v[16:17], s[6:7], v[14:15]
	v_add_u32_e32 v117, 0x1800, v131
	v_add_u32_e32 v118, 0x2000, v131
	v_fma_f64 v[68:69], v[10:11], s[4:5], v[2:3]
	v_fma_f64 v[88:89], v[10:11], s[6:7], v[2:3]
	v_add_f64 v[90:91], v[20:21], v[24:25]
	v_fma_f64 v[92:93], v[22:23], s[4:5], v[4:5]
	v_fma_f64 v[94:95], v[22:23], s[6:7], v[4:5]
	v_add_f64 v[96:97], v[28:29], v[26:27]
	v_fma_f64 v[99:100], v[8:9], s[4:5], v[6:7]
	v_fma_f64 v[101:102], v[8:9], s[6:7], v[6:7]
	s_waitcnt lgkmcnt(0)
	; wave barrier
	s_waitcnt lgkmcnt(0)
	ds_read2_b64 v[4:7], v131 offset1:63
	ds_read2_b64 v[32:35], v52 offset0:124 offset1:187
	ds_read2_b64 v[36:39], v53 offset0:120 offset1:183
	ds_read2_b64 v[40:43], v50 offset0:116 offset1:179
	ds_read2_b64 v[44:47], v54 offset0:112 offset1:175
	ds_read2_b64 v[0:3], v131 offset0:126 offset1:189
	ds_read2_b64 v[28:31], v51 offset0:122 offset1:185
	ds_read2_b64 v[24:27], v116 offset0:118 offset1:181
	ds_read2_b64 v[20:23], v117 offset0:114 offset1:177
	ds_read2_b64 v[8:11], v118 offset0:110 offset1:173
	s_waitcnt lgkmcnt(0)
	; wave barrier
	s_waitcnt lgkmcnt(0)
	ds_write2_b64 v55, v[64:65], v[70:71] offset1:12
	ds_write_b64 v55, v[72:73] offset:192
	ds_write2_b64 v62, v[66:67], v[84:85] offset1:12
	ds_write_b64 v62, v[86:87] offset:192
	;; [unrolled: 2-line block ×6, first 2 shown]
	s_and_saveexec_b64 s[6:7], s[0:1]
	s_cbranch_execz .LBB0_27
; %bb.26:
	v_add_f64 v[12:13], v[74:75], v[12:13]
	v_mul_f64 v[16:17], v[16:17], s[4:5]
	v_add_f64 v[12:13], v[12:13], v[48:49]
	v_add_f64 v[14:15], v[16:17], v[14:15]
	v_lshlrev_b32_e32 v16, 3, v76
	v_add3_u32 v16, 0, v77, v16
	ds_write2_b64 v16, v[12:13], v[14:15] offset1:12
	ds_write_b64 v16, v[82:83] offset:192
.LBB0_27:
	s_or_b64 exec, exec, s[6:7]
	v_subrev_u32_e32 v12, 36, v120
	v_cmp_gt_u32_e64 s[0:1], 36, v120
	v_cndmask_b32_e64 v48, v12, v120, s[0:1]
	v_lshlrev_b32_e32 v12, 2, v48
	v_mov_b32_e32 v13, 0
	v_lshlrev_b64 v[12:13], 4, v[12:13]
	v_mov_b32_e32 v14, s9
	v_add_co_u32_e64 v12, s[0:1], s8, v12
	v_addc_co_u32_e64 v13, s[0:1], v14, v13, s[0:1]
	s_waitcnt lgkmcnt(0)
	; wave barrier
	s_waitcnt lgkmcnt(0)
	global_load_dwordx4 v[55:58], v[12:13], off offset:592
	global_load_dwordx4 v[59:62], v[12:13], off offset:576
	;; [unrolled: 1-line block ×4, first 2 shown]
	v_mov_b32_e32 v12, 57
	v_mul_lo_u16_sdwa v13, v121, v12 dst_sel:DWORD dst_unused:UNUSED_PAD src0_sel:BYTE_0 src1_sel:DWORD
	v_lshrrev_b16_e32 v49, 11, v13
	v_mul_lo_u16_e32 v13, 36, v49
	v_sub_u16_e32 v197, v121, v13
	v_mov_b32_e32 v13, 6
	v_lshlrev_b32_sdwa v14, v13, v197 dst_sel:DWORD dst_unused:UNUSED_PAD src0_sel:DWORD src1_sel:BYTE_0
	global_load_dwordx4 v[71:74], v14, s[8:9] offset:560
	global_load_dwordx4 v[75:78], v14, s[8:9] offset:544
	;; [unrolled: 1-line block ×4, first 2 shown]
	v_mul_lo_u16_sdwa v14, v130, v12 dst_sel:DWORD dst_unused:UNUSED_PAD src0_sel:BYTE_0 src1_sel:DWORD
	v_lshrrev_b16_e32 v198, 11, v14
	v_mul_lo_u16_e32 v14, 36, v198
	v_sub_u16_e32 v199, v130, v14
	v_lshlrev_b32_sdwa v14, v13, v199 dst_sel:DWORD dst_unused:UNUSED_PAD src0_sel:DWORD src1_sel:BYTE_0
	global_load_dwordx4 v[124:127], v14, s[8:9] offset:544
	global_load_dwordx4 v[133:136], v14, s[8:9] offset:560
	;; [unrolled: 1-line block ×4, first 2 shown]
	v_mul_lo_u16_sdwa v12, v132, v12 dst_sel:DWORD dst_unused:UNUSED_PAD src0_sel:BYTE_0 src1_sel:DWORD
	v_lshrrev_b16_e32 v200, 11, v12
	v_mul_lo_u16_e32 v12, 36, v200
	v_sub_u16_e32 v201, v132, v12
	v_lshlrev_b32_sdwa v12, v13, v201 dst_sel:DWORD dst_unused:UNUSED_PAD src0_sel:DWORD src1_sel:BYTE_0
	global_load_dwordx4 v[145:148], v12, s[8:9] offset:544
	global_load_dwordx4 v[149:152], v12, s[8:9] offset:560
	;; [unrolled: 1-line block ×4, first 2 shown]
	ds_read2_b64 v[16:19], v131 offset1:63
	ds_read2_b64 v[90:93], v52 offset0:124 offset1:187
	ds_read2_b64 v[102:105], v53 offset0:120 offset1:183
	;; [unrolled: 1-line block ×9, first 2 shown]
	s_mov_b32 s4, 0x134454ff
	s_mov_b32 s5, 0xbfee6f0e
	;; [unrolled: 1-line block ×10, first 2 shown]
	v_cmp_lt_u32_e64 s[0:1], 35, v120
	s_waitcnt lgkmcnt(0)
	; wave barrier
	s_waitcnt vmcnt(15) lgkmcnt(0)
	v_mul_f64 v[114:115], v[165:166], v[57:58]
	s_waitcnt vmcnt(14)
	v_mul_f64 v[94:95], v[161:162], v[61:62]
	s_waitcnt vmcnt(13)
	;; [unrolled: 2-line block ×3, first 2 shown]
	v_mul_f64 v[52:53], v[90:91], v[69:70]
	v_mul_f64 v[69:70], v[32:33], v[69:70]
	;; [unrolled: 1-line block ×5, first 2 shown]
	s_waitcnt vmcnt(11)
	v_mul_f64 v[185:186], v[104:105], v[73:74]
	s_waitcnt vmcnt(10)
	v_mul_f64 v[128:129], v[92:93], v[77:78]
	v_mul_f64 v[77:78], v[34:35], v[77:78]
	;; [unrolled: 1-line block ×3, first 2 shown]
	s_waitcnt vmcnt(9)
	v_mul_f64 v[189:190], v[167:168], v[86:87]
	v_mul_f64 v[86:87], v[46:47], v[86:87]
	s_waitcnt vmcnt(7)
	v_mul_f64 v[191:192], v[169:170], v[126:127]
	v_mul_f64 v[187:188], v[163:164], v[98:99]
	;; [unrolled: 1-line block ×4, first 2 shown]
	s_waitcnt vmcnt(6)
	v_mul_f64 v[193:194], v[173:174], v[135:136]
	v_fma_f64 v[112:113], v[32:33], v[67:68], v[52:53]
	v_fma_f64 v[106:107], v[90:91], v[67:68], -v[69:70]
	v_fma_f64 v[108:109], v[36:37], v[63:64], v[88:89]
	v_fma_f64 v[100:101], v[102:103], v[63:64], -v[65:66]
	v_fma_f64 v[110:111], v[40:41], v[59:60], v[94:95]
	v_fma_f64 v[102:103], v[34:35], v[75:76], v[128:129]
	v_fma_f64 v[66:67], v[92:93], v[75:76], -v[77:78]
	v_fma_f64 v[68:69], v[104:105], v[71:72], -v[73:74]
	v_fma_f64 v[104:105], v[46:47], v[84:85], v[189:190]
	v_fma_f64 v[74:75], v[167:168], v[84:85], -v[86:87]
	v_fma_f64 v[84:85], v[28:29], v[124:125], v[191:192]
	s_waitcnt vmcnt(4)
	v_mul_f64 v[28:29], v[181:182], v[143:144]
	v_mul_f64 v[32:33], v[8:9], v[143:144]
	;; [unrolled: 1-line block ×3, first 2 shown]
	v_fma_f64 v[114:115], v[44:45], v[55:56], v[114:115]
	v_fma_f64 v[90:91], v[165:166], v[55:56], -v[57:58]
	v_fma_f64 v[88:89], v[38:39], v[71:72], v[185:186]
	v_fma_f64 v[92:93], v[42:43], v[96:97], v[187:188]
	v_fma_f64 v[70:71], v[163:164], v[96:97], -v[98:99]
	v_fma_f64 v[76:77], v[24:25], v[133:134], v[193:194]
	s_waitcnt vmcnt(3)
	v_mul_f64 v[24:25], v[171:172], v[147:148]
	v_fma_f64 v[96:97], v[8:9], v[141:142], v[28:29]
	v_fma_f64 v[56:57], v[181:182], v[141:142], -v[32:33]
	v_mul_f64 v[8:9], v[30:31], v[147:148]
	s_waitcnt vmcnt(2)
	v_mul_f64 v[28:29], v[175:176], v[151:152]
	v_add_f64 v[32:33], v[4:5], v[112:113]
	v_add_f64 v[36:37], v[108:109], v[110:111]
	v_fma_f64 v[94:95], v[161:162], v[59:60], -v[61:62]
	v_mul_f64 v[34:35], v[26:27], v[151:152]
	v_fma_f64 v[62:63], v[30:31], v[145:146], v[24:25]
	s_waitcnt vmcnt(1)
	v_mul_f64 v[24:25], v[179:180], v[155:156]
	v_mul_f64 v[30:31], v[22:23], v[155:156]
	v_fma_f64 v[58:59], v[171:172], v[145:146], -v[8:9]
	v_fma_f64 v[64:65], v[26:27], v[149:150], v[28:29]
	v_add_f64 v[8:9], v[32:33], v[108:109]
	v_fma_f64 v[26:27], v[36:37], -0.5, v[4:5]
	v_add_f64 v[28:29], v[106:107], -v[90:91]
	v_add_f64 v[40:41], v[112:113], v[114:115]
	v_fma_f64 v[60:61], v[175:176], v[149:150], -v[34:35]
	v_fma_f64 v[72:73], v[22:23], v[153:154], v[24:25]
	v_fma_f64 v[22:23], v[179:180], v[153:154], -v[30:31]
	s_waitcnt vmcnt(0)
	v_mul_f64 v[24:25], v[183:184], v[159:160]
	v_mul_f64 v[30:31], v[10:11], v[159:160]
	v_add_f64 v[8:9], v[8:9], v[110:111]
	v_fma_f64 v[32:33], v[28:29], s[4:5], v[26:27]
	v_add_f64 v[34:35], v[100:101], -v[94:95]
	v_add_f64 v[36:37], v[112:113], -v[108:109]
	;; [unrolled: 1-line block ×3, first 2 shown]
	v_fma_f64 v[4:5], v[40:41], -0.5, v[4:5]
	v_fma_f64 v[26:27], v[28:29], s[14:15], v[26:27]
	v_mul_f64 v[195:196], v[177:178], v[139:140]
	v_fma_f64 v[98:99], v[10:11], v[157:158], v[24:25]
	v_fma_f64 v[86:87], v[183:184], v[157:158], -v[30:31]
	v_add_f64 v[24:25], v[8:9], v[114:115]
	v_fma_f64 v[8:9], v[34:35], s[10:11], v[32:33]
	v_add_f64 v[10:11], v[36:37], v[38:39]
	v_add_f64 v[30:31], v[6:7], v[102:103]
	v_add_f64 v[32:33], v[88:89], v[92:93]
	v_fma_f64 v[36:37], v[34:35], s[14:15], v[4:5]
	v_add_f64 v[38:39], v[108:109], -v[112:113]
	v_add_f64 v[40:41], v[110:111], -v[114:115]
	v_fma_f64 v[26:27], v[34:35], s[12:13], v[26:27]
	v_fma_f64 v[4:5], v[34:35], s[4:5], v[4:5]
	;; [unrolled: 1-line block ×3, first 2 shown]
	v_add_f64 v[30:31], v[30:31], v[88:89]
	v_fma_f64 v[32:33], v[32:33], -0.5, v[6:7]
	v_add_f64 v[34:35], v[66:67], -v[74:75]
	v_fma_f64 v[36:37], v[28:29], s[10:11], v[36:37]
	v_add_f64 v[38:39], v[38:39], v[40:41]
	v_fma_f64 v[40:41], v[10:11], s[6:7], v[8:9]
	v_fma_f64 v[26:27], v[10:11], s[6:7], v[26:27]
	;; [unrolled: 1-line block ×3, first 2 shown]
	v_add_f64 v[10:11], v[102:103], v[104:105]
	v_mul_f64 v[139:140], v[20:21], v[139:140]
	v_fma_f64 v[52:53], v[169:170], v[124:125], -v[126:127]
	v_add_f64 v[8:9], v[30:31], v[92:93]
	v_fma_f64 v[28:29], v[34:35], s[4:5], v[32:33]
	v_add_f64 v[30:31], v[68:69], -v[70:71]
	v_fma_f64 v[36:37], v[38:39], s[6:7], v[36:37]
	v_add_f64 v[42:43], v[76:77], v[78:79]
	v_add_f64 v[44:45], v[102:103], -v[88:89]
	v_add_f64 v[46:47], v[104:105], -v[92:93]
	v_fma_f64 v[38:39], v[38:39], s[6:7], v[4:5]
	v_fma_f64 v[4:5], v[10:11], -0.5, v[6:7]
	v_fma_f64 v[54:55], v[173:174], v[133:134], -v[135:136]
	v_fma_f64 v[20:21], v[177:178], v[137:138], -v[139:140]
	v_fma_f64 v[6:7], v[30:31], s[10:11], v[28:29]
	v_fma_f64 v[10:11], v[42:43], -0.5, v[0:1]
	v_add_f64 v[28:29], v[52:53], -v[56:57]
	v_add_f64 v[42:43], v[44:45], v[46:47]
	v_fma_f64 v[32:33], v[34:35], s[14:15], v[32:33]
	v_fma_f64 v[44:45], v[30:31], s[14:15], v[4:5]
	v_add_f64 v[46:47], v[88:89], -v[102:103]
	v_add_f64 v[127:128], v[92:93], -v[104:105]
	v_fma_f64 v[4:5], v[30:31], s[4:5], v[4:5]
	v_add_f64 v[125:126], v[8:9], v[104:105]
	v_add_f64 v[8:9], v[0:1], v[84:85]
	v_fma_f64 v[132:133], v[28:29], s[4:5], v[10:11]
	v_add_f64 v[134:135], v[54:55], -v[20:21]
	v_fma_f64 v[30:31], v[30:31], s[12:13], v[32:33]
	v_add_f64 v[32:33], v[84:85], v[96:97]
	v_add_f64 v[46:47], v[46:47], v[127:128]
	v_fma_f64 v[4:5], v[34:35], s[12:13], v[4:5]
	v_fma_f64 v[44:45], v[34:35], s[10:11], v[44:45]
	v_add_f64 v[8:9], v[8:9], v[76:77]
	v_add_f64 v[136:137], v[84:85], -v[76:77]
	v_add_f64 v[138:139], v[96:97], -v[78:79]
	v_fma_f64 v[34:35], v[134:135], s[10:11], v[132:133]
	v_fma_f64 v[132:133], v[42:43], s[6:7], v[6:7]
	v_fma_f64 v[30:31], v[42:43], s[6:7], v[30:31]
	v_fma_f64 v[42:43], v[46:47], s[6:7], v[4:5]
	v_add_f64 v[4:5], v[64:65], v[72:73]
	v_fma_f64 v[0:1], v[32:33], -0.5, v[0:1]
	v_fma_f64 v[32:33], v[46:47], s[6:7], v[44:45]
	v_add_f64 v[46:47], v[62:63], v[98:99]
	v_add_f64 v[8:9], v[8:9], v[78:79]
	;; [unrolled: 1-line block ×3, first 2 shown]
	v_fma_f64 v[6:7], v[28:29], s[14:15], v[10:11]
	v_add_f64 v[10:11], v[76:77], -v[84:85]
	v_add_f64 v[136:137], v[78:79], -v[96:97]
	v_add_f64 v[138:139], v[2:3], v[62:63]
	v_fma_f64 v[4:5], v[4:5], -0.5, v[2:3]
	v_add_f64 v[140:141], v[58:59], -v[86:87]
	v_add_f64 v[142:143], v[60:61], -v[22:23]
	v_fma_f64 v[2:3], v[46:47], -0.5, v[2:3]
	v_add_f64 v[44:45], v[8:9], v[96:97]
	v_fma_f64 v[8:9], v[134:135], s[14:15], v[0:1]
	v_fma_f64 v[6:7], v[134:135], s[12:13], v[6:7]
	v_add_f64 v[10:11], v[10:11], v[136:137]
	v_fma_f64 v[0:1], v[134:135], s[4:5], v[0:1]
	v_add_f64 v[46:47], v[138:139], v[64:65]
	v_fma_f64 v[134:135], v[140:141], s[4:5], v[4:5]
	v_add_f64 v[136:137], v[62:63], -v[64:65]
	v_add_f64 v[138:139], v[98:99], -v[72:73]
	v_fma_f64 v[4:5], v[140:141], s[14:15], v[4:5]
	v_fma_f64 v[144:145], v[142:143], s[14:15], v[2:3]
	v_add_f64 v[146:147], v[64:65], -v[62:63]
	v_add_f64 v[148:149], v[72:73], -v[98:99]
	v_fma_f64 v[2:3], v[142:143], s[4:5], v[2:3]
	v_add_f64 v[46:47], v[46:47], v[72:73]
	v_fma_f64 v[134:135], v[142:143], s[10:11], v[134:135]
	v_add_f64 v[136:137], v[136:137], v[138:139]
	v_fma_f64 v[8:9], v[28:29], s[10:11], v[8:9]
	v_fma_f64 v[28:29], v[28:29], s[12:13], v[0:1]
	;; [unrolled: 1-line block ×4, first 2 shown]
	v_add_f64 v[144:145], v[146:147], v[148:149]
	v_fma_f64 v[140:141], v[140:141], s[12:13], v[2:3]
	v_fma_f64 v[34:35], v[127:128], s[6:7], v[34:35]
	v_add_f64 v[2:3], v[46:47], v[98:99]
	v_fma_f64 v[4:5], v[136:137], s[6:7], v[134:135]
	v_mov_b32_e32 v46, 0x5a0
	v_fma_f64 v[0:1], v[127:128], s[6:7], v[6:7]
	v_fma_f64 v[127:128], v[10:11], s[6:7], v[8:9]
	;; [unrolled: 1-line block ×5, first 2 shown]
	v_cndmask_b32_e64 v46, 0, v46, s[0:1]
	v_lshlrev_b32_e32 v47, 3, v48
	v_fma_f64 v[10:11], v[136:137], s[6:7], v[138:139]
	v_add3_u32 v119, 0, v46, v47
	ds_write2_b64 v119, v[24:25], v[40:41] offset1:36
	ds_write2_b64 v119, v[36:37], v[38:39] offset0:72 offset1:108
	ds_write_b64 v119, v[26:27] offset:1152
	v_mov_b32_e32 v25, 3
	v_mul_u32_u24_e32 v24, 0x5a0, v49
	v_lshlrev_b32_sdwa v26, v25, v197 dst_sel:DWORD dst_unused:UNUSED_PAD src0_sel:DWORD src1_sel:BYTE_0
	v_add3_u32 v124, 0, v24, v26
	v_mul_u32_u24_e32 v24, 0x5a0, v198
	v_lshlrev_b32_sdwa v26, v25, v199 dst_sel:DWORD dst_unused:UNUSED_PAD src0_sel:DWORD src1_sel:BYTE_0
	ds_write2_b64 v124, v[125:126], v[132:133] offset1:36
	ds_write2_b64 v124, v[32:33], v[42:43] offset0:72 offset1:108
	ds_write_b64 v124, v[30:31] offset:1152
	v_add3_u32 v125, 0, v24, v26
	v_mul_u32_u24_e32 v24, 0x5a0, v200
	v_lshlrev_b32_sdwa v25, v25, v201 dst_sel:DWORD dst_unused:UNUSED_PAD src0_sel:DWORD src1_sel:BYTE_0
	v_add3_u32 v126, 0, v24, v25
	ds_write2_b64 v125, v[44:45], v[34:35] offset1:36
	ds_write2_b64 v125, v[127:128], v[28:29] offset0:72 offset1:108
	ds_write_b64 v125, v[0:1] offset:1152
	ds_write2_b64 v126, v[2:3], v[4:5] offset1:36
	ds_write2_b64 v126, v[6:7], v[8:9] offset0:72 offset1:108
	ds_write_b64 v126, v[10:11] offset:1152
	s_waitcnt lgkmcnt(0)
	; wave barrier
	s_waitcnt lgkmcnt(0)
	ds_read2_b64 v[24:27], v131 offset1:63
	ds_read2_b64 v[28:31], v131 offset0:180 offset1:243
	ds_read2_b64 v[44:47], v51 offset0:104 offset1:167
	;; [unrolled: 1-line block ×6, first 2 shown]
	v_cmp_gt_u32_e64 s[0:1], 54, v120
	s_and_saveexec_b64 s[16:17], s[0:1]
	s_cbranch_execz .LBB0_29
; %bb.28:
	v_add_u32_e32 v0, 0x200, v131
	v_add_u32_e32 v4, 0xe00, v131
	;; [unrolled: 1-line block ×3, first 2 shown]
	ds_read2_b64 v[0:3], v0 offset0:62 offset1:242
	ds_read2_b64 v[4:7], v4 offset0:38 offset1:218
	;; [unrolled: 1-line block ×3, first 2 shown]
	ds_read_b64 v[80:81], v131 offset:9648
.LBB0_29:
	s_or_b64 exec, exec, s[16:17]
	v_add_f64 v[116:117], v[100:101], v[94:95]
	v_add_f64 v[112:113], v[112:113], -v[114:115]
	v_add_f64 v[114:115], v[106:107], v[90:91]
	v_add_f64 v[127:128], v[16:17], v[106:107]
	v_add_f64 v[108:109], v[108:109], -v[110:111]
	v_add_f64 v[110:111], v[106:107], -v[100:101]
	v_add_f64 v[132:133], v[90:91], -v[94:95]
	v_add_f64 v[106:107], v[100:101], -v[106:107]
	v_fma_f64 v[116:117], v[116:117], -0.5, v[16:17]
	v_add_f64 v[134:135], v[94:95], -v[90:91]
	v_fma_f64 v[16:17], v[114:115], -0.5, v[16:17]
	v_add_f64 v[114:115], v[68:69], v[70:71]
	v_add_f64 v[100:101], v[127:128], v[100:101]
	v_add_f64 v[102:103], v[102:103], -v[104:105]
	v_add_f64 v[110:111], v[110:111], v[132:133]
	v_add_f64 v[136:137], v[18:19], v[66:67]
	v_fma_f64 v[104:105], v[112:113], s[14:15], v[116:117]
	v_fma_f64 v[116:117], v[112:113], s[4:5], v[116:117]
	;; [unrolled: 1-line block ×4, first 2 shown]
	v_add_f64 v[127:128], v[66:67], v[74:75]
	v_add_f64 v[94:95], v[100:101], v[94:95]
	;; [unrolled: 1-line block ×4, first 2 shown]
	v_fma_f64 v[100:101], v[108:109], s[12:13], v[104:105]
	v_fma_f64 v[104:105], v[108:109], s[10:11], v[116:117]
	v_fma_f64 v[108:109], v[114:115], -0.5, v[18:19]
	v_fma_f64 v[114:115], v[112:113], s[12:13], v[132:133]
	v_fma_f64 v[16:17], v[112:113], s[10:11], v[16:17]
	v_add_f64 v[90:91], v[94:95], v[90:91]
	v_add_f64 v[88:89], v[88:89], -v[92:93]
	v_add_f64 v[112:113], v[66:67], -v[68:69]
	v_fma_f64 v[94:95], v[110:111], s[6:7], v[100:101]
	v_fma_f64 v[100:101], v[110:111], s[6:7], v[104:105]
	;; [unrolled: 1-line block ×4, first 2 shown]
	v_add_f64 v[110:111], v[54:55], v[20:21]
	v_add_f64 v[114:115], v[74:75], -v[70:71]
	v_fma_f64 v[106:107], v[106:107], s[6:7], v[16:17]
	v_fma_f64 v[16:17], v[127:128], -0.5, v[18:19]
	v_add_f64 v[116:117], v[136:137], v[70:71]
	v_add_f64 v[84:85], v[84:85], -v[96:97]
	v_fma_f64 v[18:19], v[88:89], s[12:13], v[104:105]
	v_add_f64 v[104:105], v[12:13], v[52:53]
	v_fma_f64 v[110:111], v[110:111], -0.5, v[12:13]
	v_add_f64 v[96:97], v[112:113], v[114:115]
	v_fma_f64 v[108:109], v[102:103], s[4:5], v[108:109]
	v_fma_f64 v[112:113], v[88:89], s[4:5], v[16:17]
	v_add_f64 v[66:67], v[68:69], -v[66:67]
	v_add_f64 v[68:69], v[70:71], -v[74:75]
	v_fma_f64 v[16:17], v[88:89], s[14:15], v[16:17]
	v_add_f64 v[116:117], v[116:117], v[74:75]
	v_add_f64 v[70:71], v[104:105], v[54:55]
	v_fma_f64 v[74:75], v[84:85], s[14:15], v[110:111]
	v_add_f64 v[76:77], v[76:77], -v[78:79]
	v_add_f64 v[78:79], v[52:53], -v[54:55]
	;; [unrolled: 1-line block ×3, first 2 shown]
	v_fma_f64 v[88:89], v[88:89], s[10:11], v[108:109]
	v_fma_f64 v[112:113], v[102:103], s[12:13], v[112:113]
	v_add_f64 v[66:67], v[66:67], v[68:69]
	v_fma_f64 v[16:17], v[102:103], s[10:11], v[16:17]
	v_add_f64 v[108:109], v[52:53], v[56:57]
	v_add_f64 v[68:69], v[70:71], v[20:21]
	v_fma_f64 v[70:71], v[76:77], s[12:13], v[74:75]
	v_add_f64 v[74:75], v[78:79], v[104:105]
	v_fma_f64 v[78:79], v[96:97], s[6:7], v[18:19]
	v_fma_f64 v[88:89], v[96:97], s[6:7], v[88:89]
	;; [unrolled: 1-line block ×4, first 2 shown]
	v_add_f64 v[16:17], v[60:61], v[22:23]
	v_add_f64 v[52:53], v[54:55], -v[52:53]
	v_add_f64 v[54:55], v[58:59], v[86:87]
	v_fma_f64 v[12:13], v[108:109], -0.5, v[12:13]
	v_add_f64 v[68:69], v[68:69], v[56:57]
	v_fma_f64 v[18:19], v[84:85], s[4:5], v[110:111]
	v_add_f64 v[20:21], v[20:21], -v[56:57]
	v_add_f64 v[56:57], v[14:15], v[58:59]
	v_fma_f64 v[16:17], v[16:17], -0.5, v[14:15]
	v_add_f64 v[62:63], v[62:63], -v[98:99]
	v_add_f64 v[64:65], v[64:65], -v[72:73]
	v_fma_f64 v[14:15], v[54:55], -0.5, v[14:15]
	v_fma_f64 v[102:103], v[76:77], s[4:5], v[12:13]
	v_fma_f64 v[18:19], v[76:77], s[10:11], v[18:19]
	v_add_f64 v[20:21], v[52:53], v[20:21]
	v_fma_f64 v[12:13], v[76:77], s[14:15], v[12:13]
	v_add_f64 v[52:53], v[56:57], v[60:61]
	v_fma_f64 v[54:55], v[62:63], s[14:15], v[16:17]
	v_add_f64 v[56:57], v[58:59], -v[60:61]
	v_add_f64 v[72:73], v[86:87], -v[22:23]
	v_fma_f64 v[16:17], v[62:63], s[4:5], v[16:17]
	v_fma_f64 v[76:77], v[64:65], s[4:5], v[14:15]
	v_add_f64 v[58:59], v[60:61], -v[58:59]
	v_add_f64 v[60:61], v[22:23], -v[86:87]
	v_fma_f64 v[14:15], v[64:65], s[14:15], v[14:15]
	v_fma_f64 v[98:99], v[84:85], s[12:13], v[102:103]
	v_fma_f64 v[84:85], v[84:85], s[10:11], v[12:13]
	v_add_f64 v[22:23], v[52:53], v[22:23]
	v_fma_f64 v[52:53], v[64:65], s[12:13], v[54:55]
	v_add_f64 v[54:55], v[56:57], v[72:73]
	v_fma_f64 v[56:57], v[64:65], s[10:11], v[16:17]
	v_fma_f64 v[64:65], v[62:63], s[12:13], v[76:77]
	v_add_f64 v[58:59], v[58:59], v[60:61]
	v_fma_f64 v[60:61], v[62:63], s[10:11], v[14:15]
	v_fma_f64 v[70:71], v[74:75], s[6:7], v[70:71]
	;; [unrolled: 1-line block ×5, first 2 shown]
	v_add_f64 v[14:15], v[22:23], v[86:87]
	v_fma_f64 v[16:17], v[54:55], s[6:7], v[52:53]
	v_fma_f64 v[22:23], v[54:55], s[6:7], v[56:57]
	;; [unrolled: 1-line block ×4, first 2 shown]
	v_add_u32_e32 v56, 0x800, v131
	s_waitcnt lgkmcnt(0)
	; wave barrier
	s_waitcnt lgkmcnt(0)
	ds_write2_b64 v119, v[90:91], v[94:95] offset1:36
	ds_write2_b64 v119, v[92:93], v[106:107] offset0:72 offset1:108
	ds_write_b64 v119, v[100:101] offset:1152
	ds_write2_b64 v124, v[116:117], v[78:79] offset1:36
	ds_write2_b64 v124, v[96:97], v[66:67] offset0:72 offset1:108
	ds_write_b64 v124, v[88:89] offset:1152
	;; [unrolled: 3-line block ×4, first 2 shown]
	s_waitcnt lgkmcnt(0)
	; wave barrier
	s_waitcnt lgkmcnt(0)
	ds_read2_b64 v[52:55], v131 offset1:63
	ds_read2_b64 v[68:71], v131 offset0:180 offset1:243
	ds_read2_b64 v[64:67], v56 offset0:104 offset1:167
	v_add_u32_e32 v56, 0x1000, v131
	v_add_u32_e32 v60, 0x1400, v131
	;; [unrolled: 1-line block ×4, first 2 shown]
	ds_read2_b64 v[56:59], v56 offset0:28 offset1:91
	ds_read2_b64 v[60:63], v60 offset0:80 offset1:143
	;; [unrolled: 1-line block ×4, first 2 shown]
	s_and_saveexec_b64 s[4:5], s[0:1]
	s_cbranch_execz .LBB0_31
; %bb.30:
	v_add_u32_e32 v12, 0x200, v131
	v_add_u32_e32 v16, 0xe00, v131
	;; [unrolled: 1-line block ×3, first 2 shown]
	ds_read2_b64 v[12:15], v12 offset0:62 offset1:242
	ds_read2_b64 v[16:19], v16 offset0:38 offset1:218
	;; [unrolled: 1-line block ×3, first 2 shown]
	ds_read_b64 v[82:83], v131 offset:9648
.LBB0_31:
	s_or_b64 exec, exec, s[4:5]
	s_and_saveexec_b64 s[4:5], vcc
	s_cbranch_execz .LBB0_34
; %bb.32:
	v_mul_u32_u24_e32 v84, 6, v121
	v_lshlrev_b32_e32 v108, 4, v84
	global_load_dwordx4 v[84:87], v108, s[8:9] offset:2848
	global_load_dwordx4 v[88:91], v108, s[8:9] offset:2928
	;; [unrolled: 1-line block ×6, first 2 shown]
	v_mul_u32_u24_e32 v108, 6, v120
	v_lshlrev_b32_e32 v121, 4, v108
	global_load_dwordx4 v[108:111], v121, s[8:9] offset:2848
	global_load_dwordx4 v[112:115], v121, s[8:9] offset:2928
	;; [unrolled: 1-line block ×6, first 2 shown]
	s_mov_b32 s20, 0xe976ee23
	s_mov_b32 s21, 0x3fe11646
	;; [unrolled: 1-line block ×20, first 2 shown]
	v_mov_b32_e32 v121, 0
	s_waitcnt vmcnt(11) lgkmcnt(5)
	v_mul_f64 v[128:129], v[70:71], v[86:87]
	s_waitcnt vmcnt(10) lgkmcnt(0)
	v_mul_f64 v[139:140], v[78:79], v[90:91]
	s_waitcnt vmcnt(9)
	v_mul_f64 v[141:142], v[62:63], v[94:95]
	s_waitcnt vmcnt(8)
	;; [unrolled: 2-line block ×4, first 2 shown]
	v_mul_f64 v[147:148], v[74:75], v[106:107]
	v_mul_f64 v[90:91], v[38:39], v[90:91]
	;; [unrolled: 1-line block ×7, first 2 shown]
	s_waitcnt vmcnt(1)
	v_mul_f64 v[157:158], v[64:65], v[133:134]
	s_waitcnt vmcnt(0)
	v_mul_f64 v[159:160], v[72:73], v[137:138]
	v_fma_f64 v[30:31], v[30:31], v[84:85], v[128:129]
	v_fma_f64 v[38:39], v[38:39], v[88:89], v[139:140]
	;; [unrolled: 1-line block ×6, first 2 shown]
	v_fma_f64 v[78:79], v[78:79], v[88:89], -v[90:91]
	v_fma_f64 v[70:71], v[70:71], v[84:85], -v[86:87]
	;; [unrolled: 1-line block ×4, first 2 shown]
	v_mul_f64 v[137:138], v[48:49], v[137:138]
	v_mul_f64 v[133:134], v[44:45], v[133:134]
	v_fma_f64 v[58:59], v[58:59], v[96:97], -v[98:99]
	v_fma_f64 v[62:63], v[62:63], v[92:93], -v[94:95]
	v_fma_f64 v[88:89], v[44:45], v[131:132], v[157:158]
	v_fma_f64 v[90:91], v[48:49], v[135:136], v[159:160]
	v_add_f64 v[44:45], v[30:31], -v[38:39]
	v_add_f64 v[48:49], v[34:35], -v[42:43]
	;; [unrolled: 1-line block ×3, first 2 shown]
	v_add_f64 v[94:95], v[70:71], v[78:79]
	v_add_f64 v[96:97], v[66:67], v[74:75]
	;; [unrolled: 1-line block ×6, first 2 shown]
	v_add_f64 v[42:43], v[70:71], -v[78:79]
	v_add_f64 v[46:47], v[62:63], -v[58:59]
	;; [unrolled: 1-line block ×4, first 2 shown]
	v_add_f64 v[66:67], v[94:95], v[96:97]
	v_add_f64 v[78:79], v[30:31], v[38:39]
	v_add_f64 v[58:59], v[44:45], -v[48:49]
	v_add_f64 v[48:49], v[48:49], v[92:93]
	v_add_f64 v[70:71], v[94:95], -v[98:99]
	v_add_f64 v[100:101], v[30:31], -v[34:35]
	;; [unrolled: 1-line block ×5, first 2 shown]
	v_add_f64 v[46:47], v[46:47], v[50:51]
	v_add_f64 v[30:31], v[38:39], -v[30:31]
	v_add_f64 v[38:39], v[50:51], -v[42:43]
	v_mul_f64 v[50:51], v[62:63], s[20:21]
	v_add_f64 v[62:63], v[98:99], v[66:67]
	v_add_f64 v[34:35], v[34:35], v[78:79]
	v_mul_f64 v[149:150], v[68:69], v[110:111]
	v_mul_f64 v[110:111], v[28:29], v[110:111]
	v_add_f64 v[74:75], v[98:99], -v[96:97]
	v_add_f64 v[92:93], v[92:93], -v[44:45]
	;; [unrolled: 1-line block ×3, first 2 shown]
	v_add_f64 v[48:49], v[44:45], v[48:49]
	v_mul_f64 v[66:67], v[70:71], s[24:25]
	v_mul_f64 v[78:79], v[100:101], s[24:25]
	;; [unrolled: 1-line block ×3, first 2 shown]
	v_add_f64 v[46:47], v[42:43], v[46:47]
	v_add_f64 v[44:45], v[54:55], v[62:63]
	v_add_f64 v[42:43], v[26:27], v[34:35]
	v_mul_f64 v[151:152], v[76:77], v[114:115]
	v_mul_f64 v[153:154], v[60:61], v[118:119]
	;; [unrolled: 1-line block ×4, first 2 shown]
	v_fma_f64 v[68:69], v[68:69], v[108:109], -v[110:111]
	v_mul_f64 v[74:75], v[74:75], s[18:19]
	v_mul_f64 v[98:99], v[106:107], s[20:21]
	;; [unrolled: 1-line block ×3, first 2 shown]
	v_fma_f64 v[110:111], v[58:59], s[10:11], v[50:51]
	v_fma_f64 v[26:27], v[100:101], s[24:25], v[96:97]
	v_fma_f64 v[66:67], v[94:95], s[16:17], -v[66:67]
	v_fma_f64 v[78:79], v[30:31], s[16:17], -v[78:79]
	;; [unrolled: 1-line block ×3, first 2 shown]
	v_fma_f64 v[62:63], v[62:63], s[6:7], v[44:45]
	v_fma_f64 v[34:35], v[34:35], s[6:7], v[42:43]
	v_fma_f64 v[30:31], v[30:31], s[22:23], -v[96:97]
	v_fma_f64 v[84:85], v[32:33], v[116:117], v[153:154]
	v_fma_f64 v[86:87], v[40:41], v[124:125], v[155:156]
	v_fma_f64 v[76:77], v[76:77], v[112:113], -v[114:115]
	v_fma_f64 v[72:73], v[72:73], v[135:136], -v[137:138]
	v_mul_f64 v[102:103], v[92:93], s[14:15]
	v_fma_f64 v[54:55], v[70:71], s[24:25], v[74:75]
	v_fma_f64 v[70:71], v[104:105], s[10:11], v[98:99]
	v_fma_f64 v[100:101], v[104:105], s[12:13], -v[106:107]
	v_fma_f64 v[74:75], v[94:95], s[22:23], -v[74:75]
	;; [unrolled: 1-line block ×3, first 2 shown]
	v_add_f64 v[98:99], v[26:27], v[34:35]
	v_fma_f64 v[26:27], v[48:49], s[4:5], v[50:51]
	v_add_f64 v[50:51], v[66:67], v[62:63]
	v_add_f64 v[66:67], v[30:31], v[34:35]
	v_fma_f64 v[64:65], v[64:65], v[131:132], -v[133:134]
	v_mul_f64 v[30:31], v[40:41], v[126:127]
	v_mul_f64 v[32:33], v[32:33], v[118:119]
	v_fma_f64 v[58:59], v[58:59], s[12:13], -v[102:103]
	v_fma_f64 v[94:95], v[46:47], s[4:5], v[100:101]
	v_add_f64 v[96:97], v[54:55], v[62:63]
	v_add_f64 v[54:55], v[78:79], v[34:35]
	v_add_f64 v[62:63], v[74:75], v[62:63]
	v_fma_f64 v[28:29], v[28:29], v[108:109], v[149:150]
	v_fma_f64 v[40:41], v[36:37], v[112:113], v[151:152]
	v_add_f64 v[74:75], v[84:85], -v[86:87]
	v_add_f64 v[78:79], v[88:89], -v[90:91]
	v_add_f64 v[100:101], v[68:69], v[76:77]
	v_add_f64 v[102:103], v[64:65], v[72:73]
	v_fma_f64 v[104:105], v[56:57], v[124:125], -v[30:31]
	v_fma_f64 v[60:61], v[60:61], v[116:117], -v[32:33]
	v_fma_f64 v[92:93], v[48:49], s[4:5], v[110:111]
	v_fma_f64 v[58:59], v[48:49], s[4:5], v[58:59]
	v_add_f64 v[112:113], v[28:29], v[40:41]
	v_add_f64 v[56:57], v[74:75], -v[78:79]
	v_add_f64 v[88:89], v[88:89], v[90:91]
	v_add_f64 v[108:109], v[100:101], v[102:103]
	v_add_f64 v[36:37], v[62:63], -v[26:27]
	v_add_f64 v[110:111], v[60:61], v[104:105]
	v_add_f64 v[106:107], v[28:29], -v[40:41]
	v_add_f64 v[32:33], v[58:59], v[50:51]
	v_add_f64 v[40:41], v[26:27], v[62:63]
	v_mul_f64 v[90:91], v[56:57], s[20:21]
	v_add_f64 v[56:57], v[50:51], -v[58:59]
	v_add_f64 v[50:51], v[112:113], v[88:89]
	v_add_f64 v[58:59], v[84:85], v[86:87]
	;; [unrolled: 1-line block ×3, first 2 shown]
	v_fma_f64 v[38:39], v[46:47], s[4:5], v[38:39]
	v_add_f64 v[60:61], v[60:61], -v[104:105]
	v_add_f64 v[64:65], v[64:65], -v[72:73]
	v_add_f64 v[72:73], v[110:111], -v[102:103]
	v_add_f64 v[68:69], v[68:69], -v[76:77]
	v_add_f64 v[62:63], v[106:107], -v[74:75]
	v_add_f64 v[50:51], v[58:59], v[50:51]
	v_add_f64 v[28:29], v[52:53], v[26:27]
	v_add_f64 v[84:85], v[58:59], -v[88:89]
	v_add_f64 v[34:35], v[38:39], v[66:67]
	v_add_f64 v[38:39], v[66:67], -v[38:39]
	;; [unrolled: 2-line block ×3, first 2 shown]
	v_add_f64 v[76:77], v[60:61], -v[64:65]
	v_mul_f64 v[72:73], v[72:73], s[18:19]
	v_fma_f64 v[86:87], v[26:27], s[6:7], v[28:29]
	v_add_f64 v[26:27], v[24:25], v[50:51]
	v_add_f64 v[24:25], v[112:113], -v[58:59]
	v_mul_f64 v[58:59], v[84:85], s[18:19]
	v_add_f64 v[84:85], v[68:69], -v[60:61]
	v_add_f64 v[60:61], v[60:61], v[64:65]
	v_add_f64 v[78:79], v[78:79], -v[106:107]
	v_add_f64 v[64:65], v[64:65], -v[68:69]
	;; [unrolled: 1-line block ×3, first 2 shown]
	v_add_f64 v[54:55], v[94:95], v[54:55]
	v_mul_f64 v[94:95], v[52:53], s[24:25]
	v_mul_f64 v[76:77], v[76:77], s[20:21]
	v_fma_f64 v[52:53], v[52:53], s[24:25], v[72:73]
	v_add_f64 v[60:61], v[68:69], v[60:61]
	v_mul_f64 v[68:69], v[78:79], s[14:15]
	v_add_f64 v[100:101], v[102:103], -v[100:101]
	v_add_f64 v[88:89], v[88:89], -v[112:113]
	v_fma_f64 v[74:75], v[62:63], s[10:11], v[90:91]
	v_add_f64 v[66:67], v[106:107], v[66:67]
	v_mul_f64 v[104:105], v[24:25], s[24:25]
	v_mul_f64 v[102:103], v[64:65], s[14:15]
	v_fma_f64 v[50:51], v[50:51], s[6:7], v[26:27]
	v_fma_f64 v[24:25], v[24:25], s[24:25], v[58:59]
	;; [unrolled: 1-line block ×3, first 2 shown]
	v_add_f64 v[110:111], v[52:53], v[86:87]
	v_fma_f64 v[52:53], v[62:63], s[12:13], -v[68:69]
	v_fma_f64 v[62:63], v[100:101], s[16:17], -v[94:95]
	;; [unrolled: 1-line block ×6, first 2 shown]
	v_fma_f64 v[108:109], v[66:67], s[4:5], v[74:75]
	v_fma_f64 v[68:69], v[88:89], s[16:17], -v[104:105]
	v_fma_f64 v[74:75], v[84:85], s[12:13], -v[102:103]
	v_fma_f64 v[70:71], v[46:47], s[4:5], v[70:71]
	v_add_f64 v[24:25], v[24:25], v[50:51]
	v_fma_f64 v[106:107], v[60:61], s[4:5], v[106:107]
	v_fma_f64 v[76:77], v[66:67], s[4:5], v[52:53]
	v_add_f64 v[84:85], v[62:63], v[86:87]
	v_add_f64 v[72:73], v[72:73], v[86:87]
	;; [unrolled: 1-line block ×3, first 2 shown]
	v_fma_f64 v[90:91], v[60:61], s[4:5], v[64:65]
	v_fma_f64 v[78:79], v[66:67], s[4:5], v[78:79]
	v_add_f64 v[88:89], v[68:69], v[50:51]
	v_fma_f64 v[74:75], v[60:61], s[4:5], v[74:75]
	v_add_f64 v[46:47], v[98:99], -v[70:71]
	v_add_f64 v[50:51], v[70:71], v[98:99]
	v_add_f64 v[64:65], v[76:77], v[84:85]
	v_add_f64 v[76:77], v[84:85], -v[76:77]
	v_add_f64 v[66:67], v[90:91], v[86:87]
	v_add_f64 v[70:71], v[86:87], -v[90:91]
	v_add_f64 v[86:87], v[110:111], -v[108:109]
	v_add_f64 v[84:85], v[106:107], v[24:25]
	v_add_f64 v[58:59], v[24:25], -v[106:107]
	v_add_f64 v[68:69], v[72:73], -v[78:79]
	v_add_f64 v[72:73], v[78:79], v[72:73]
	v_mov_b32_e32 v24, s3
	v_add_co_u32_e32 v78, vcc, s2, v122
	v_add_f64 v[62:63], v[88:89], -v[74:75]
	v_add_f64 v[74:75], v[74:75], v[88:89]
	v_addc_co_u32_e32 v79, vcc, v24, v123, vcc
	v_lshlrev_b64 v[24:25], 4, v[120:121]
	s_movk_i32 s2, 0x1000
	v_add_co_u32_e32 v24, vcc, v78, v24
	v_addc_co_u32_e32 v25, vcc, v79, v25, vcc
	v_add_f64 v[60:61], v[108:109], v[110:111]
	global_store_dwordx4 v[24:25], v[26:29], off
	global_store_dwordx4 v[24:25], v[84:87], off offset:2880
	v_add_co_u32_e32 v26, vcc, s2, v24
	v_addc_co_u32_e32 v27, vcc, 0, v25, vcc
	s_movk_i32 s2, 0x2000
	v_add_f64 v[52:53], v[96:97], -v[92:93]
	v_add_co_u32_e32 v28, vcc, s2, v24
	v_addc_co_u32_e32 v29, vcc, 0, v25, vcc
	s_movk_i32 s2, 0x3000
	global_store_dwordx4 v[26:27], v[74:77], off offset:1664
	global_store_dwordx4 v[28:29], v[70:73], off offset:448
	;; [unrolled: 1-line block ×3, first 2 shown]
	v_add_f64 v[48:49], v[92:93], v[96:97]
	v_add_co_u32_e32 v66, vcc, s2, v24
	v_addc_co_u32_e32 v67, vcc, 0, v25, vcc
	s_movk_i32 s2, 0x4000
	global_store_dwordx4 v[66:67], v[62:65], off offset:2112
	s_nop 0
	v_add_co_u32_e32 v62, vcc, s2, v24
	v_addc_co_u32_e32 v63, vcc, 0, v25, vcc
	global_store_dwordx4 v[62:63], v[58:61], off offset:896
	global_store_dwordx4 v[24:25], v[42:45], off offset:1008
	;; [unrolled: 1-line block ×8, first 2 shown]
	s_and_b64 exec, exec, s[0:1]
	s_cbranch_execz .LBB0_34
; %bb.33:
	v_subrev_u32_e32 v30, 54, v120
	v_cndmask_b32_e64 v30, v30, v130, s[0:1]
	v_mul_i32_i24_e32 v120, 6, v30
	v_lshlrev_b64 v[30:31], 4, v[120:121]
	v_mov_b32_e32 v32, s9
	v_add_co_u32_e32 v54, vcc, s8, v30
	v_addc_co_u32_e32 v55, vcc, v32, v31, vcc
	global_load_dwordx4 v[30:33], v[54:55], off offset:2848
	global_load_dwordx4 v[34:37], v[54:55], off offset:2864
	;; [unrolled: 1-line block ×6, first 2 shown]
	v_add_co_u32_e32 v54, vcc, 0x3000, v24
	v_addc_co_u32_e32 v55, vcc, 0, v25, vcc
	s_waitcnt vmcnt(5)
	v_mul_f64 v[56:57], v[14:15], v[32:33]
	v_mul_f64 v[32:33], v[2:3], v[32:33]
	s_waitcnt vmcnt(4)
	v_mul_f64 v[58:59], v[16:17], v[36:37]
	v_mul_f64 v[36:37], v[4:5], v[36:37]
	;; [unrolled: 3-line block ×4, first 2 shown]
	v_mul_f64 v[60:61], v[18:19], v[40:41]
	v_mul_f64 v[40:41], v[6:7], v[40:41]
	;; [unrolled: 1-line block ×4, first 2 shown]
	v_fma_f64 v[2:3], v[2:3], v[30:31], v[56:57]
	v_fma_f64 v[14:15], v[14:15], v[30:31], -v[32:33]
	v_fma_f64 v[4:5], v[4:5], v[34:35], v[58:59]
	v_fma_f64 v[16:17], v[16:17], v[34:35], -v[36:37]
	;; [unrolled: 2-line block ×6, first 2 shown]
	v_add_f64 v[34:35], v[2:3], v[30:31]
	v_add_f64 v[36:37], v[14:15], v[32:33]
	v_add_f64 v[2:3], v[2:3], -v[30:31]
	v_add_f64 v[14:15], v[14:15], -v[32:33]
	v_add_f64 v[30:31], v[4:5], v[10:11]
	v_add_f64 v[32:33], v[16:17], v[22:23]
	v_add_f64 v[4:5], v[4:5], -v[10:11]
	v_add_f64 v[10:11], v[16:17], -v[22:23]
	;; [unrolled: 4-line block ×4, first 2 shown]
	v_add_f64 v[34:35], v[34:35], -v[16:17]
	v_add_f64 v[36:37], v[36:37], -v[22:23]
	;; [unrolled: 1-line block ×4, first 2 shown]
	v_add_f64 v[42:43], v[6:7], v[4:5]
	v_add_f64 v[44:45], v[8:9], v[10:11]
	v_add_f64 v[46:47], v[6:7], -v[4:5]
	v_add_f64 v[48:49], v[8:9], -v[10:11]
	v_add_f64 v[16:17], v[16:17], v[18:19]
	v_add_f64 v[18:19], v[22:23], v[20:21]
	v_add_f64 v[4:5], v[4:5], -v[2:3]
	v_add_f64 v[10:11], v[10:11], -v[14:15]
	;; [unrolled: 1-line block ×4, first 2 shown]
	v_add_f64 v[20:21], v[42:43], v[2:3]
	v_add_f64 v[14:15], v[44:45], v[14:15]
	v_mul_f64 v[22:23], v[34:35], s[24:25]
	v_mul_f64 v[34:35], v[36:37], s[24:25]
	;; [unrolled: 1-line block ×6, first 2 shown]
	v_add_f64 v[0:1], v[0:1], v[16:17]
	v_add_f64 v[2:3], v[12:13], v[18:19]
	v_mul_f64 v[48:49], v[4:5], s[14:15]
	v_mul_f64 v[50:51], v[10:11], s[14:15]
	v_fma_f64 v[12:13], v[30:31], s[18:19], v[22:23]
	v_fma_f64 v[30:31], v[32:33], s[18:19], v[34:35]
	v_fma_f64 v[32:33], v[38:39], s[22:23], -v[36:37]
	v_fma_f64 v[36:37], v[40:41], s[22:23], -v[42:43]
	;; [unrolled: 1-line block ×4, first 2 shown]
	v_fma_f64 v[38:39], v[6:7], s[10:11], v[44:45]
	v_fma_f64 v[40:41], v[8:9], s[10:11], v[46:47]
	v_fma_f64 v[16:17], v[16:17], s[6:7], v[0:1]
	v_fma_f64 v[18:19], v[18:19], s[6:7], v[2:3]
	v_fma_f64 v[4:5], v[4:5], s[14:15], -v[44:45]
	v_fma_f64 v[6:7], v[6:7], s[12:13], -v[48:49]
	;; [unrolled: 1-line block ×4, first 2 shown]
	v_fma_f64 v[38:39], v[20:21], s[4:5], v[38:39]
	v_fma_f64 v[40:41], v[14:15], s[4:5], v[40:41]
	v_add_f64 v[48:49], v[12:13], v[16:17]
	v_add_f64 v[50:51], v[30:31], v[18:19]
	v_fma_f64 v[42:43], v[20:21], s[4:5], v[4:5]
	v_fma_f64 v[46:47], v[20:21], s[4:5], v[6:7]
	;; [unrolled: 1-line block ×3, first 2 shown]
	v_add_f64 v[22:23], v[22:23], v[16:17]
	v_add_f64 v[30:31], v[34:35], v[18:19]
	v_fma_f64 v[44:45], v[14:15], s[4:5], v[10:11]
	v_add_f64 v[16:17], v[32:33], v[16:17]
	v_add_f64 v[18:19], v[36:37], v[18:19]
	;; [unrolled: 1-line block ×3, first 2 shown]
	v_add_f64 v[6:7], v[50:51], -v[38:39]
	v_add_f64 v[32:33], v[38:39], v[50:51]
	v_add_f64 v[8:9], v[20:21], v[22:23]
	v_add_f64 v[10:11], v[30:31], -v[46:47]
	v_add_f64 v[20:21], v[22:23], -v[20:21]
	;; [unrolled: 1-line block ×3, first 2 shown]
	v_add_f64 v[14:15], v[42:43], v[18:19]
	v_add_f64 v[16:17], v[44:45], v[16:17]
	v_add_f64 v[18:19], v[18:19], -v[42:43]
	v_add_f64 v[22:23], v[46:47], v[30:31]
	v_add_f64 v[30:31], v[48:49], -v[40:41]
	v_add_co_u32_e32 v34, vcc, 0x4000, v24
	v_addc_co_u32_e32 v35, vcc, 0, v25, vcc
	global_store_dwordx4 v[24:25], v[0:3], off offset:2016
	global_store_dwordx4 v[26:27], v[4:7], off offset:800
	global_store_dwordx4 v[26:27], v[8:11], off offset:3680
	global_store_dwordx4 v[28:29], v[12:15], off offset:2464
	global_store_dwordx4 v[54:55], v[16:19], off offset:1248
	global_store_dwordx4 v[34:35], v[20:23], off offset:32
	global_store_dwordx4 v[34:35], v[30:33], off offset:2912
.LBB0_34:
	s_endpgm
	.section	.rodata,"a",@progbits
	.p2align	6, 0x0
	.amdhsa_kernel fft_rtc_back_len1260_factors_2_2_3_3_5_7_wgs_63_tpt_63_halfLds_dp_ip_CI_unitstride_sbrr_dirReg
		.amdhsa_group_segment_fixed_size 0
		.amdhsa_private_segment_fixed_size 0
		.amdhsa_kernarg_size 88
		.amdhsa_user_sgpr_count 6
		.amdhsa_user_sgpr_private_segment_buffer 1
		.amdhsa_user_sgpr_dispatch_ptr 0
		.amdhsa_user_sgpr_queue_ptr 0
		.amdhsa_user_sgpr_kernarg_segment_ptr 1
		.amdhsa_user_sgpr_dispatch_id 0
		.amdhsa_user_sgpr_flat_scratch_init 0
		.amdhsa_user_sgpr_private_segment_size 0
		.amdhsa_uses_dynamic_stack 0
		.amdhsa_system_sgpr_private_segment_wavefront_offset 0
		.amdhsa_system_sgpr_workgroup_id_x 1
		.amdhsa_system_sgpr_workgroup_id_y 0
		.amdhsa_system_sgpr_workgroup_id_z 0
		.amdhsa_system_sgpr_workgroup_info 0
		.amdhsa_system_vgpr_workitem_id 0
		.amdhsa_next_free_vgpr 202
		.amdhsa_next_free_sgpr 26
		.amdhsa_reserve_vcc 1
		.amdhsa_reserve_flat_scratch 0
		.amdhsa_float_round_mode_32 0
		.amdhsa_float_round_mode_16_64 0
		.amdhsa_float_denorm_mode_32 3
		.amdhsa_float_denorm_mode_16_64 3
		.amdhsa_dx10_clamp 1
		.amdhsa_ieee_mode 1
		.amdhsa_fp16_overflow 0
		.amdhsa_exception_fp_ieee_invalid_op 0
		.amdhsa_exception_fp_denorm_src 0
		.amdhsa_exception_fp_ieee_div_zero 0
		.amdhsa_exception_fp_ieee_overflow 0
		.amdhsa_exception_fp_ieee_underflow 0
		.amdhsa_exception_fp_ieee_inexact 0
		.amdhsa_exception_int_div_zero 0
	.end_amdhsa_kernel
	.text
.Lfunc_end0:
	.size	fft_rtc_back_len1260_factors_2_2_3_3_5_7_wgs_63_tpt_63_halfLds_dp_ip_CI_unitstride_sbrr_dirReg, .Lfunc_end0-fft_rtc_back_len1260_factors_2_2_3_3_5_7_wgs_63_tpt_63_halfLds_dp_ip_CI_unitstride_sbrr_dirReg
                                        ; -- End function
	.section	.AMDGPU.csdata,"",@progbits
; Kernel info:
; codeLenInByte = 14780
; NumSgprs: 30
; NumVgprs: 202
; ScratchSize: 0
; MemoryBound: 1
; FloatMode: 240
; IeeeMode: 1
; LDSByteSize: 0 bytes/workgroup (compile time only)
; SGPRBlocks: 3
; VGPRBlocks: 50
; NumSGPRsForWavesPerEU: 30
; NumVGPRsForWavesPerEU: 202
; Occupancy: 1
; WaveLimiterHint : 1
; COMPUTE_PGM_RSRC2:SCRATCH_EN: 0
; COMPUTE_PGM_RSRC2:USER_SGPR: 6
; COMPUTE_PGM_RSRC2:TRAP_HANDLER: 0
; COMPUTE_PGM_RSRC2:TGID_X_EN: 1
; COMPUTE_PGM_RSRC2:TGID_Y_EN: 0
; COMPUTE_PGM_RSRC2:TGID_Z_EN: 0
; COMPUTE_PGM_RSRC2:TIDIG_COMP_CNT: 0
	.type	__hip_cuid_f853bb70cf06c8fa,@object ; @__hip_cuid_f853bb70cf06c8fa
	.section	.bss,"aw",@nobits
	.globl	__hip_cuid_f853bb70cf06c8fa
__hip_cuid_f853bb70cf06c8fa:
	.byte	0                               ; 0x0
	.size	__hip_cuid_f853bb70cf06c8fa, 1

	.ident	"AMD clang version 19.0.0git (https://github.com/RadeonOpenCompute/llvm-project roc-6.4.0 25133 c7fe45cf4b819c5991fe208aaa96edf142730f1d)"
	.section	".note.GNU-stack","",@progbits
	.addrsig
	.addrsig_sym __hip_cuid_f853bb70cf06c8fa
	.amdgpu_metadata
---
amdhsa.kernels:
  - .args:
      - .actual_access:  read_only
        .address_space:  global
        .offset:         0
        .size:           8
        .value_kind:     global_buffer
      - .offset:         8
        .size:           8
        .value_kind:     by_value
      - .actual_access:  read_only
        .address_space:  global
        .offset:         16
        .size:           8
        .value_kind:     global_buffer
      - .actual_access:  read_only
        .address_space:  global
        .offset:         24
        .size:           8
        .value_kind:     global_buffer
      - .offset:         32
        .size:           8
        .value_kind:     by_value
      - .actual_access:  read_only
        .address_space:  global
        .offset:         40
        .size:           8
        .value_kind:     global_buffer
      - .actual_access:  read_only
        .address_space:  global
        .offset:         48
        .size:           8
        .value_kind:     global_buffer
      - .offset:         56
        .size:           4
        .value_kind:     by_value
      - .actual_access:  read_only
        .address_space:  global
        .offset:         64
        .size:           8
        .value_kind:     global_buffer
      - .actual_access:  read_only
        .address_space:  global
        .offset:         72
        .size:           8
        .value_kind:     global_buffer
      - .address_space:  global
        .offset:         80
        .size:           8
        .value_kind:     global_buffer
    .group_segment_fixed_size: 0
    .kernarg_segment_align: 8
    .kernarg_segment_size: 88
    .language:       OpenCL C
    .language_version:
      - 2
      - 0
    .max_flat_workgroup_size: 63
    .name:           fft_rtc_back_len1260_factors_2_2_3_3_5_7_wgs_63_tpt_63_halfLds_dp_ip_CI_unitstride_sbrr_dirReg
    .private_segment_fixed_size: 0
    .sgpr_count:     30
    .sgpr_spill_count: 0
    .symbol:         fft_rtc_back_len1260_factors_2_2_3_3_5_7_wgs_63_tpt_63_halfLds_dp_ip_CI_unitstride_sbrr_dirReg.kd
    .uniform_work_group_size: 1
    .uses_dynamic_stack: false
    .vgpr_count:     202
    .vgpr_spill_count: 0
    .wavefront_size: 64
amdhsa.target:   amdgcn-amd-amdhsa--gfx906
amdhsa.version:
  - 1
  - 2
...

	.end_amdgpu_metadata
